;; amdgpu-corpus repo=triton-lang/triton kind=triton arch=gfx950 opt=O3 lang=triton
	.amdgcn_target "amdgcn-amd-amdhsa--gfx950"
	.amdhsa_code_object_version 5
	.text
	.globl	_attn_bwd                       ; -- Begin function _attn_bwd
	.p2align	8
	.type	_attn_bwd,@function
_attn_bwd:                              ; @_attn_bwd
.Lfunc_begin0:
	.cfi_sections .debug_frame
	.cfi_startproc
; %bb.106:
	.file	1 "/root/src/amdgpu-assembly/repos/triton-lang__triton-aot" "attention_bwd.py"
	.loc	1 126 0 prologue_end            ; attention_bwd.py:126:0
	s_load_dwordx2 s[2:3], s[0:1], 0x0
	s_load_dwordx8 s[4:11], s[0:1], 0x8
	s_load_dwordx4 s[12:15], s[0:1], 0x28
	s_waitcnt lgkmcnt(0)
	s_branch .LBB0_0
	.loc	1 0 0 is_stmt 0                 ; :0:0
.Ltmp0:
	.p2align	8
; %bb.107:
.LBB0_0:
                                        ; implicit-def: $vgpr255 : SGPR spill to VGPR lane
	s_load_dwordx2 s[80:81], s[0:1], 0x60
	s_load_dwordx4 s[20:23], s[0:1], 0x50
	v_writelane_b32 v255, s14, 0
.Ltmp1:
	.loc	1 114 19 is_stmt 1              ; attention_bwd.py:114:19 @[ attention_bwd.py:253:40 ]
	v_readfirstlane_b32 s9, v0
.Ltmp2:
	.loc	1 171 58                        ; attention_bwd.py:171:58
	v_mov_b32_e32 v2, 0x7f
	v_writelane_b32 v255, s15, 1
	v_writelane_b32 v255, s12, 2
	.loc	1 144 55                        ; attention_bwd.py:144:55
	s_abs_i32 s15, s17
	s_waitcnt lgkmcnt(0)
	s_xor_b32 s14, s17, s80
	v_writelane_b32 v255, s13, 3
	s_abs_i32 s12, s80
	v_cvt_f32_u32_e32 v1, s12
	s_sub_i32 s18, 0, s12
	.loc	1 259 22                        ; attention_bwd.py:259:22
	s_and_b32 s13, s9, 0x1c0
	.loc	1 144 55                        ; attention_bwd.py:144:55
	s_ashr_i32 s14, s14, 31
	v_rcp_iflag_f32_e32 v1, v1
	.loc	1 165 36                        ; attention_bwd.py:165:36
	v_and_b32_e32 v173, 31, v0
	.loc	1 171 16                        ; attention_bwd.py:171:16
	v_lshlrev_b32_e32 v81, 8, v173
.Ltmp3:
	.loc	1 41 36                         ; attention_bwd.py:41:36 @[ attention_bwd.py:200:26 ]
	v_mul_lo_u32 v204, s22, v173
.Ltmp4:
	.loc	1 144 55                        ; attention_bwd.py:144:55
	v_mul_f32_e32 v1, 0x4f7ffffe, v1
	v_cvt_u32_f32_e32 v1, v1
.Ltmp5:
	.loc	1 41 18                         ; attention_bwd.py:41:18 @[ attention_bwd.py:200:26 ]
	v_ashrrev_i32_e32 v205, 31, v204
.Ltmp6:
	.loc	1 144 55                        ; attention_bwd.py:144:55
	v_readfirstlane_b32 s19, v1
	s_mul_i32 s18, s18, s19
	s_mul_hi_u32 s18, s19, s18
	s_add_i32 s19, s19, s18
	s_mul_hi_u32 s18, s15, s19
	s_mul_i32 s19, s18, s12
	s_sub_i32 s15, s15, s19
	s_add_i32 s19, s18, 1
	s_sub_i32 s24, s15, s12
	s_cmp_ge_u32 s15, s12
	s_cselect_b32 s18, s19, s18
	s_cselect_b32 s15, s24, s15
	s_add_i32 s19, s18, 1
	s_cmp_ge_u32 s15, s12
	s_cselect_b32 s12, s19, s18
	s_xor_b32 s12, s12, s14
	s_sub_i32 s12, s12, s14
	.loc	1 144 30 is_stmt 0              ; attention_bwd.py:144:30
	s_mul_i32 s14, s12, s80
	s_sub_i32 s14, s17, s14
	.loc	1 144 23                        ; attention_bwd.py:144:23
	s_mul_i32 s14, s14, s21
	.loc	1 144 47                        ; attention_bwd.py:144:47
	s_mul_i32 s12, s12, s20
	.loc	1 144 35                        ; attention_bwd.py:144:35
	s_add_i32 s14, s12, s14
	.loc	1 144 62                        ; attention_bwd.py:144:62
	s_ashr_i32 s15, s14, 31
	.loc	1 148 9 is_stmt 1               ; attention_bwd.py:148:9
	s_lshl_b64 s[34:35], s[14:15], 1
	s_add_u32 s48, s2, s34
	s_addc_u32 s49, s3, s35
	.loc	1 149 9                         ; attention_bwd.py:149:9
	s_add_u32 s38, s4, s34
	s_addc_u32 s39, s5, s35
	.loc	1 150 9                         ; attention_bwd.py:150:9
	s_add_u32 s36, s6, s34
	s_addc_u32 s37, s7, s35
	.loc	1 161 20                        ; attention_bwd.py:161:20
	s_lshl_b32 s14, s16, 6
	.loc	1 165 36                        ; attention_bwd.py:165:36
	s_bfe_u32 s16, s9, 0x20007
	s_or_b32 s12, s16, s14
	.loc	1 165 23 is_stmt 0              ; attention_bwd.py:165:23
	s_or_b32 s24, s12, 24
	s_or_b32 s41, s12, 52
	.loc	1 171 38 is_stmt 1              ; attention_bwd.py:171:38
	s_mul_i32 s40, s12, s22
	s_mul_i32 s54, s24, s22
	;; [unrolled: 1-line block ×3, first 2 shown]
	.loc	1 171 20 is_stmt 0              ; attention_bwd.py:171:20
	s_ashr_i32 s41, s40, 31
	.loc	1 165 36 is_stmt 1              ; attention_bwd.py:165:36
	s_and_b32 s74, s9, 0x180
	s_and_b32 s33, s9, 64
	.loc	1 165 23 is_stmt 0              ; attention_bwd.py:165:23
	s_or_b32 s15, s12, 4
	s_or_b32 s18, s12, 8
	;; [unrolled: 1-line block ×13, first 2 shown]
	.loc	1 171 20 is_stmt 1              ; attention_bwd.py:171:20
	s_lshl_b64 s[40:41], s[40:41], 1
	.loc	1 171 38 is_stmt 0              ; attention_bwd.py:171:38
	s_mul_i32 s42, s15, s22
	.loc	1 171 20                        ; attention_bwd.py:171:20
	s_add_u32 s62, s38, s40
	.loc	1 171 38                        ; attention_bwd.py:171:38
	s_mul_i32 s50, s20, s22
	s_mul_i32 s20, s43, s22
	.loc	1 171 20                        ; attention_bwd.py:171:20
	s_addc_u32 s63, s39, s41
	s_ashr_i32 s43, s42, 31
	s_lshl_b64 s[42:43], s[42:43], 1
	.loc	1 171 38                        ; attention_bwd.py:171:38
	s_mul_i32 s44, s18, s22
	.loc	1 171 20                        ; attention_bwd.py:171:20
	s_add_u32 s64, s38, s42
	.loc	1 165 36 is_stmt 1              ; attention_bwd.py:165:36
	v_and_b32_e32 v1, 63, v0
	.loc	1 171 38                        ; attention_bwd.py:171:38
	s_mul_i32 s18, s45, s22
	.loc	1 171 20 is_stmt 0              ; attention_bwd.py:171:20
	s_addc_u32 s65, s39, s43
	s_ashr_i32 s45, s44, 31
	s_lshl_b64 s[44:45], s[44:45], 1
	.loc	1 171 58                        ; attention_bwd.py:171:58
	v_bitop3_b32 v2, s13, v2, v1 bitop3:0xc8
	.loc	1 171 38                        ; attention_bwd.py:171:38
	s_mul_i32 s46, s19, s22
	.loc	1 171 20                        ; attention_bwd.py:171:20
	s_add_u32 s66, s38, s44
	.loc	1 171 69                        ; attention_bwd.py:171:69
	v_mul_lo_u32 v2, v2, s23
	.loc	1 171 20                        ; attention_bwd.py:171:20
	s_addc_u32 s67, s39, s45
	s_ashr_i32 s47, s46, 31
	.loc	1 171 51                        ; attention_bwd.py:171:51
	v_ashrrev_i32_e32 v3, 31, v2
	.loc	1 171 20                        ; attention_bwd.py:171:20
	s_lshl_b64 s[46:47], s[46:47], 1
	.loc	1 171 51                        ; attention_bwd.py:171:51
	v_lshlrev_b64 v[82:83], 1, v[2:3]
	v_lshl_add_u64 v[4:5], s[62:63], 0, v[82:83]
	.loc	1 171 20                        ; attention_bwd.py:171:20
	s_add_u32 s62, s38, s46
	s_addc_u32 s63, s39, s47
	s_ashr_i32 s51, s50, 31
	s_lshl_b64 s[50:51], s[50:51], 1
	.loc	1 171 38                        ; attention_bwd.py:171:38
	s_mul_i32 s52, s21, s22
	.loc	1 171 51                        ; attention_bwd.py:171:51
	v_lshl_add_u64 v[6:7], s[64:65], 0, v[82:83]
	.loc	1 171 20                        ; attention_bwd.py:171:20
	s_add_u32 s64, s38, s50
	s_addc_u32 s65, s39, s51
	s_ashr_i32 s53, s52, 31
	s_lshl_b64 s[52:53], s[52:53], 1
	.loc	1 171 51                        ; attention_bwd.py:171:51
	v_lshl_add_u64 v[8:9], s[66:67], 0, v[82:83]
	.loc	1 171 20                        ; attention_bwd.py:171:20
	s_add_u32 s66, s38, s52
	s_addc_u32 s67, s39, s53
	s_ashr_i32 s55, s54, 31
	s_lshl_b64 s[54:55], s[54:55], 1
	.loc	1 171 38                        ; attention_bwd.py:171:38
	s_mul_i32 s56, s25, s22
	.loc	1 171 51                        ; attention_bwd.py:171:51
	v_lshl_add_u64 v[10:11], s[62:63], 0, v[82:83]
	.loc	1 171 20                        ; attention_bwd.py:171:20
	s_add_u32 s62, s38, s54
	s_addc_u32 s63, s39, s55
	s_ashr_i32 s57, s56, 31
	s_lshl_b64 s[56:57], s[56:57], 1
	.loc	1 171 38                        ; attention_bwd.py:171:38
	s_mul_i32 s58, s26, s22
	;; [unrolled: 9-line block ×4, first 2 shown]
	.loc	1 171 20                        ; attention_bwd.py:171:20
	s_add_u32 s68, s38, s60
	.loc	1 171 38                        ; attention_bwd.py:171:38
	s_mul_i32 s26, s31, s22
	.loc	1 171 20                        ; attention_bwd.py:171:20
	s_addc_u32 s69, s39, s61
	s_ashr_i32 s31, s30, 31
	.loc	1 171 51                        ; attention_bwd.py:171:51
	v_lshl_add_u64 v[16:17], s[62:63], 0, v[82:83]
	.loc	1 171 20                        ; attention_bwd.py:171:20
	s_lshl_b64 s[62:63], s[30:31], 1
	.loc	1 171 38                        ; attention_bwd.py:171:38
	s_mul_i32 s28, s29, s22
	.loc	1 171 20                        ; attention_bwd.py:171:20
	s_add_u32 s30, s38, s62
	s_addc_u32 s31, s39, s63
	s_ashr_i32 s29, s28, 31
	.loc	1 171 51                        ; attention_bwd.py:171:51
	v_lshl_add_u64 v[18:19], s[64:65], 0, v[82:83]
	.loc	1 171 20                        ; attention_bwd.py:171:20
	s_lshl_b64 s[64:65], s[28:29], 1
	s_add_u32 s28, s38, s64
	s_addc_u32 s29, s39, s65
	s_ashr_i32 s27, s26, 31
	.loc	1 171 51                        ; attention_bwd.py:171:51
	v_lshl_add_u64 v[20:21], s[66:67], 0, v[82:83]
	.loc	1 171 20                        ; attention_bwd.py:171:20
	s_lshl_b64 s[66:67], s[26:27], 1
	s_add_u32 s26, s38, s66
	s_addc_u32 s27, s39, s67
	s_ashr_i32 s25, s24, 31
	.loc	1 171 51                        ; attention_bwd.py:171:51
	v_lshl_add_u64 v[22:23], s[68:69], 0, v[82:83]
	.loc	1 171 20                        ; attention_bwd.py:171:20
	s_lshl_b64 s[68:69], s[24:25], 1
	s_add_u32 s24, s38, s68
	s_addc_u32 s25, s39, s69
	s_ashr_i32 s21, s20, 31
	s_lshl_b64 s[70:71], s[20:21], 1
	s_add_u32 s20, s38, s70
	s_addc_u32 s21, s39, s71
	s_ashr_i32 s19, s18, 31
	s_lshl_b64 s[72:73], s[18:19], 1
	s_add_u32 s18, s38, s72
	.loc	1 171 51                        ; attention_bwd.py:171:51
	v_lshl_add_u64 v[26:27], s[26:27], 0, v[82:83]
	.loc	1 171 16                        ; attention_bwd.py:171:16
	global_load_ushort v28, v[4:5], off
	s_nop 0
	global_load_ushort v12, v[12:13], off
	s_nop 0
	;; [unrolled: 2-line block ×3, first 2 shown]
	global_load_ushort v20, v[26:27], off
	.loc	1 171 51                        ; attention_bwd.py:171:51
	v_lshl_add_u64 v[4:5], s[24:25], 0, v[82:83]
	.loc	1 171 20                        ; attention_bwd.py:171:20
	s_addc_u32 s19, s39, s73
	.loc	1 171 16                        ; attention_bwd.py:171:16
	global_load_ushort v21, v[6:7], off
	s_nop 0
	global_load_ushort v14, v[14:15], off
	s_nop 0
	;; [unrolled: 2-line block ×3, first 2 shown]
	global_load_ushort v22, v[4:5], off
	.loc	1 171 51                        ; attention_bwd.py:171:51
	v_lshl_add_u64 v[4:5], s[20:21], 0, v[82:83]
	v_lshl_add_u64 v[6:7], s[18:19], 0, v[82:83]
	;; [unrolled: 1-line block ×3, first 2 shown]
	.loc	1 171 16                        ; attention_bwd.py:171:16
	global_load_ushort v8, v[8:9], off
	s_nop 0
	global_load_ushort v9, v[16:17], off
	s_nop 0
	global_load_ushort v16, v[24:25], off
	global_load_ushort v17, v[4:5], off
	.loc	1 171 51                        ; attention_bwd.py:171:51
	v_lshl_add_u64 v[4:5], s[28:29], 0, v[82:83]
	.loc	1 171 16                        ; attention_bwd.py:171:16
	global_load_ushort v18, v[18:19], off
	s_nop 0
	global_load_ushort v10, v[10:11], off
	s_nop 0
	;; [unrolled: 2-line block ×3, first 2 shown]
	global_load_ushort v7, v[4:5], off
	s_lshr_b32 s12, s74, 3
	.loc	1 172 20 is_stmt 1              ; attention_bwd.py:172:20
	s_add_u32 s18, s36, s40
	s_addc_u32 s19, s37, s41
	s_add_u32 s20, s36, s42
	.loc	1 165 36                        ; attention_bwd.py:165:36
	v_or_b32_e32 v36, s13, v1
	.loc	1 172 20                        ; attention_bwd.py:172:20
	s_addc_u32 s21, s37, s43
	.loc	1 171 16                        ; attention_bwd.py:171:16
	v_lshlrev_b32_e32 v4, 1, v36
	.loc	1 172 20                        ; attention_bwd.py:172:20
	s_add_u32 s24, s36, s44
	.loc	1 171 16                        ; attention_bwd.py:171:16
	v_xor_b32_e32 v4, s12, v4
	.loc	1 172 20                        ; attention_bwd.py:172:20
	s_addc_u32 s25, s37, s45
	v_xor_b32_e32 v5, 64, v4
	s_add_u32 s26, s36, s46
	.loc	1 171 16                        ; attention_bwd.py:171:16
	v_add_u32_e32 v156, 0, v4
	v_add_u32_e32 v176, 0, v5
	v_xor_b32_e32 v5, 0x80, v4
	v_xor_b32_e32 v4, 0xc0, v4
	.loc	1 172 20                        ; attention_bwd.py:172:20
	s_addc_u32 s27, s37, s47
	.loc	1 171 16                        ; attention_bwd.py:171:16
	v_add_u32_e32 v166, 0, v5
	v_add_u32_e32 v250, 0, v4
	.loc	1 172 51                        ; attention_bwd.py:172:51
	v_lshl_add_u64 v[4:5], s[18:19], 0, v[82:83]
	.loc	1 172 20 is_stmt 0              ; attention_bwd.py:172:20
	s_add_u32 s18, s36, s50
	s_addc_u32 s19, s37, s51
	.loc	1 171 16 is_stmt 1              ; attention_bwd.py:171:16
	s_waitcnt vmcnt(2)
	ds_write_b16 v250, v10 offset:3072
	ds_write_b16 v250, v18 offset:7168
	s_waitcnt vmcnt(0)
	ds_write_b16 v250, v7 offset:11264
	ds_write_b16 v250, v6 offset:15360
	.loc	1 172 51                        ; attention_bwd.py:172:51
	v_lshl_add_u64 v[6:7], s[20:21], 0, v[82:83]
	.loc	1 172 20 is_stmt 0              ; attention_bwd.py:172:20
	s_add_u32 s20, s36, s52
	s_addc_u32 s21, s37, s53
	.loc	1 171 16 is_stmt 1              ; attention_bwd.py:171:16
	ds_write_b16 v166, v8 offset:2048
	ds_write_b16 v166, v9 offset:6144
	;; [unrolled: 1-line block ×4, first 2 shown]
	.loc	1 172 51                        ; attention_bwd.py:172:51
	v_lshl_add_u64 v[8:9], s[24:25], 0, v[82:83]
	.loc	1 172 20 is_stmt 0              ; attention_bwd.py:172:20
	s_add_u32 s24, s36, s54
	s_addc_u32 s25, s37, s55
	.loc	1 172 51                        ; attention_bwd.py:172:51
	v_lshl_add_u64 v[10:11], s[26:27], 0, v[82:83]
	.loc	1 172 20                        ; attention_bwd.py:172:20
	s_add_u32 s26, s36, s56
	s_addc_u32 s27, s37, s57
	.loc	1 171 16 is_stmt 1              ; attention_bwd.py:171:16
	ds_write_b16 v156, v28
	ds_write_b16 v156, v12 offset:4096
	ds_write_b16 v156, v13 offset:8192
	;; [unrolled: 1-line block ×3, first 2 shown]
	.loc	1 172 51                        ; attention_bwd.py:172:51
	v_lshl_add_u64 v[12:13], s[18:19], 0, v[82:83]
	.loc	1 172 20 is_stmt 0              ; attention_bwd.py:172:20
	s_add_u32 s18, s36, s58
	s_addc_u32 s19, s37, s59
	.loc	1 171 16 is_stmt 1              ; attention_bwd.py:171:16
	ds_write_b16 v176, v21 offset:1024
	ds_write_b16 v176, v14 offset:5120
	;; [unrolled: 1-line block ×4, first 2 shown]
	.loc	1 172 51                        ; attention_bwd.py:172:51
	v_lshl_add_u64 v[14:15], s[20:21], 0, v[82:83]
	.loc	1 172 20 is_stmt 0              ; attention_bwd.py:172:20
	s_add_u32 s20, s36, s60
	s_addc_u32 s21, s37, s61
	.loc	1 172 51                        ; attention_bwd.py:172:51
	v_lshl_add_u64 v[16:17], s[24:25], 0, v[82:83]
	.loc	1 172 20                        ; attention_bwd.py:172:20
	s_add_u32 s24, s36, s62
	s_addc_u32 s25, s37, s63
	.loc	1 172 51                        ; attention_bwd.py:172:51
	v_lshl_add_u64 v[18:19], s[26:27], 0, v[82:83]
	.loc	1 172 20                        ; attention_bwd.py:172:20
	;; [unrolled: 5-line block ×6, first 2 shown]
	s_add_u32 s26, s36, s72
	s_addc_u32 s27, s37, s73
	.loc	1 171 16 is_stmt 1              ; attention_bwd.py:171:16
	s_waitcnt lgkmcnt(0)
	s_barrier
	.loc	1 172 51                        ; attention_bwd.py:172:51
	v_lshl_add_u64 v[28:29], s[18:19], 0, v[82:83]
	v_lshl_add_u64 v[30:31], s[20:21], 0, v[82:83]
	;; [unrolled: 1-line block ×4, first 2 shown]
	.loc	1 172 16 is_stmt 0              ; attention_bwd.py:172:16
	global_load_ushort v37, v[4:5], off
	s_nop 0
	global_load_ushort v12, v[12:13], off
	s_nop 0
	;; [unrolled: 2-line block ×6, first 2 shown]
	global_load_ushort v15, v[22:23], off
	global_load_ushort v21, v[30:31], off
	s_nop 0
	global_load_ushort v8, v[8:9], off
	s_nop 0
	;; [unrolled: 2-line block ×3, first 2 shown]
	global_load_ushort v16, v[24:25], off
	global_load_ushort v17, v[32:33], off
	s_nop 0
	global_load_ushort v18, v[18:19], off
	s_nop 0
	;; [unrolled: 2-line block ×3, first 2 shown]
	global_load_ushort v19, v[34:35], off
	global_load_ushort v22, v[26:27], off
	.loc	1 171 58 is_stmt 1              ; attention_bwd.py:171:58
	v_and_b32_e32 v6, 32, v0
	.loc	1 171 16 is_stmt 0              ; attention_bwd.py:171:16
	v_lshlrev_b32_e32 v4, 4, v0
	v_lshrrev_b32_e32 v10, 1, v6
	s_movk_i32 s18, 0xf0
	v_lshl_or_b32 v5, s33, 7, v81
	v_bitop3_b32 v84, v4, v10, s18 bitop3:0x6c
	v_or_b32_e32 v4, v5, v84
	v_add_u32_e32 v174, 0, v4
	v_bitop3_b32 v4, v5, 32, v84 bitop3:0x36
	v_add_u32_e32 v175, 0, v4
	v_bitop3_b32 v4, v5, 64, v84 bitop3:0x36
	s_movk_i32 s18, 0x60
	s_movk_i32 s12, 0x80
	v_add_u32_e32 v157, 0, v4
	v_bitop3_b32 v4, v5, s18, v84 bitop3:0x36
	v_add_u32_e32 v162, 0, v4
	v_bitop3_b32 v4, v5, s12, v84 bitop3:0x36
	s_movk_i32 s12, 0xa0
	s_movk_i32 s15, 0xc0
	v_add_u32_e32 v163, 0, v4
	v_bitop3_b32 v4, v5, s12, v84 bitop3:0x36
	v_add_u32_e32 v164, 0, v4
	v_bitop3_b32 v4, v5, s15, v84 bitop3:0x36
	s_movk_i32 s12, 0xe0
	v_add_u32_e32 v172, 0, v4
	v_bitop3_b32 v4, v5, s12, v84 bitop3:0x36
	ds_read_b128 v[98:101], v174
	ds_read_b128 v[86:89], v175
	;; [unrolled: 1-line block ×6, first 2 shown]
	v_add_u32_e32 v203, 0, v4
	ds_read_b128 v[168:171], v172
	ds_read_b128 v[236:239], v203
	.loc	1 172 16 is_stmt 1              ; attention_bwd.py:172:16
	s_waitcnt lgkmcnt(0)
	s_barrier
	s_waitcnt vmcnt(15)
	ds_write_b16 v156, v37
	s_waitcnt vmcnt(14)
	ds_write_b16 v156, v12 offset:4096
	s_waitcnt vmcnt(13)
	ds_write_b16 v156, v13 offset:8192
	;; [unrolled: 2-line block ×12, first 2 shown]
	ds_write_b16 v250, v18 offset:7168
	s_waitcnt vmcnt(0)
	ds_write_b16 v250, v22 offset:11264
	ds_write_b16 v250, v19 offset:15360
.Ltmp7:
	.loc	1 41 56                         ; attention_bwd.py:41:56 @[ attention_bwd.py:200:26 ]
	v_lshrrev_b32_e32 v15, 5, v36
	.loc	1 41 67 is_stmt 0               ; attention_bwd.py:41:67 @[ attention_bwd.py:200:26 ]
	v_mul_lo_u32 v206, v15, s23
	.loc	1 47 25 is_stmt 1               ; attention_bwd.py:47:25 @[ attention_bwd.py:200:26 ]
	s_cmp_gt_i32 s81, 31
	.loc	1 41 18                         ; attention_bwd.py:41:18 @[ attention_bwd.py:200:26 ]
	v_lshl_add_u64 v[4:5], v[204:205], 1, s[48:49]
	.loc	1 47 25                         ; attention_bwd.py:47:25 @[ attention_bwd.py:200:26 ]
	s_cselect_b64 s[20:21], -1, 0
	s_cmp_lt_i32 s81, 32
	.loc	1 41 49                         ; attention_bwd.py:41:49 @[ attention_bwd.py:200:26 ]
	v_ashrrev_i32_e32 v207, 31, v206
.Ltmp8:
	.loc	1 172 16                        ; attention_bwd.py:172:16
	s_waitcnt lgkmcnt(0)
	s_barrier
.Ltmp9:
	.loc	1 48 21                         ; attention_bwd.py:48:21 @[ attention_bwd.py:200:26 ]
	s_cbranch_scc1 .LBB0_2
; %bb.1:
	.loc	1 41 49                         ; attention_bwd.py:41:49 @[ attention_bwd.py:200:26 ]
	v_lshl_add_u64 v[8:9], v[206:207], 1, v[4:5]
	.loc	1 48 21                         ; attention_bwd.py:48:21 @[ attention_bwd.py:200:26 ]
	global_load_ushort v7, v[8:9], off
	s_branch .LBB0_3
.LBB0_2:
	.loc	1 0 21 is_stmt 0                ; attention_bwd.py:0:21
	v_mov_b32_e32 v7, 0
.LBB0_3:
	.loc	1 41 56 is_stmt 1               ; attention_bwd.py:41:56 @[ attention_bwd.py:200:26 ]
	v_or_b32_e32 v8, 16, v15
	.loc	1 41 67 is_stmt 0               ; attention_bwd.py:41:67 @[ attention_bwd.py:200:26 ]
	v_mul_lo_u32 v208, v8, s23
	.loc	1 48 21 is_stmt 1               ; attention_bwd.py:48:21 @[ attention_bwd.py:200:26 ]
	v_cndmask_b32_e64 v8, 0, 1, s[20:21]
	v_cmp_ne_u32_e64 s[18:19], 1, v8
	s_andn2_b64 vcc, exec, s[20:21]
	.loc	1 41 49                         ; attention_bwd.py:41:49 @[ attention_bwd.py:200:26 ]
	v_ashrrev_i32_e32 v209, 31, v208
	.loc	1 48 21                         ; attention_bwd.py:48:21 @[ attention_bwd.py:200:26 ]
	s_cbranch_vccnz .LBB0_5
; %bb.4:
	.loc	1 41 49                         ; attention_bwd.py:41:49 @[ attention_bwd.py:200:26 ]
	v_lshl_add_u64 v[8:9], v[208:209], 1, v[4:5]
	.loc	1 48 21                         ; attention_bwd.py:48:21 @[ attention_bwd.py:200:26 ]
	global_load_ushort v8, v[8:9], off
	s_branch .LBB0_6
.LBB0_5:
	.loc	1 0 21 is_stmt 0                ; attention_bwd.py:0:21
	v_mov_b32_e32 v8, 0
.LBB0_6:
	.loc	1 41 56 is_stmt 1               ; attention_bwd.py:41:56 @[ attention_bwd.py:200:26 ]
	v_or_b32_e32 v9, 32, v15
	.loc	1 41 67 is_stmt 0               ; attention_bwd.py:41:67 @[ attention_bwd.py:200:26 ]
	v_mul_lo_u32 v210, v9, s23
	.loc	1 48 21 is_stmt 1               ; attention_bwd.py:48:21 @[ attention_bwd.py:200:26 ]
	s_and_b64 vcc, exec, s[18:19]
	.loc	1 41 49                         ; attention_bwd.py:41:49 @[ attention_bwd.py:200:26 ]
	v_ashrrev_i32_e32 v211, 31, v210
	.loc	1 48 21                         ; attention_bwd.py:48:21 @[ attention_bwd.py:200:26 ]
	s_cbranch_vccnz .LBB0_8
; %bb.7:
	.loc	1 41 49                         ; attention_bwd.py:41:49 @[ attention_bwd.py:200:26 ]
	v_lshl_add_u64 v[12:13], v[210:211], 1, v[4:5]
	.loc	1 48 21                         ; attention_bwd.py:48:21 @[ attention_bwd.py:200:26 ]
	global_load_ushort v9, v[12:13], off
	s_branch .LBB0_9
.LBB0_8:
	.loc	1 0 21 is_stmt 0                ; attention_bwd.py:0:21
	v_mov_b32_e32 v9, 0
.LBB0_9:
	.loc	1 41 56 is_stmt 1               ; attention_bwd.py:41:56 @[ attention_bwd.py:200:26 ]
	v_or_b32_e32 v11, 48, v15
	.loc	1 41 67 is_stmt 0               ; attention_bwd.py:41:67 @[ attention_bwd.py:200:26 ]
	v_mul_lo_u32 v178, v11, s23
	.loc	1 48 21 is_stmt 1               ; attention_bwd.py:48:21 @[ attention_bwd.py:200:26 ]
	s_and_b64 vcc, exec, s[18:19]
	;; [unrolled: 20-line block ×6, first 2 shown]
	.loc	1 41 49                         ; attention_bwd.py:41:49 @[ attention_bwd.py:200:26 ]
	v_ashrrev_i32_e32 v221, 31, v220
	.loc	1 48 21                         ; attention_bwd.py:48:21 @[ attention_bwd.py:200:26 ]
	s_cbranch_vccnz .LBB0_23
; %bb.22:
	.loc	1 41 49                         ; attention_bwd.py:41:49 @[ attention_bwd.py:200:26 ]
	v_lshl_add_u64 v[4:5], v[220:221], 1, v[4:5]
	.loc	1 48 21                         ; attention_bwd.py:48:21 @[ attention_bwd.py:200:26 ]
	global_load_ushort v4, v[4:5], off
	s_branch .LBB0_24
.Ltmp10:
.LBB0_23:
	.loc	1 0 21 is_stmt 0                ; attention_bwd.py:0:21
	v_mov_b32_e32 v4, 0
.LBB0_24:
	.loc	1 151 10 is_stmt 1              ; attention_bwd.py:151:10
	s_add_u32 s80, s10, s34
.Ltmp11:
	.loc	1 42 37                         ; attention_bwd.py:42:37 @[ attention_bwd.py:200:26 ]
	s_mul_i32 s82, s16, s22
.Ltmp12:
	.loc	1 151 10                        ; attention_bwd.py:151:10
	s_addc_u32 s98, s11, s35
.Ltmp13:
	.loc	1 58 21                         ; attention_bwd.py:58:21 @[ attention_bwd.py:200:26 ]
	s_and_b64 vcc, exec, s[18:19]
	.loc	1 42 19                         ; attention_bwd.py:42:19 @[ attention_bwd.py:200:26 ]
	s_ashr_i32 s83, s82, 31
	.loc	1 58 21                         ; attention_bwd.py:58:21 @[ attention_bwd.py:200:26 ]
	s_cbranch_vccnz .LBB0_28
; %bb.25:
	.loc	1 42 19                         ; attention_bwd.py:42:19 @[ attention_bwd.py:200:26 ]
	s_lshl_b64 s[24:25], s[82:83], 1
	s_add_u32 s24, s80, s24
	s_addc_u32 s25, s98, s25
	.loc	1 42 50 is_stmt 0               ; attention_bwd.py:42:50 @[ attention_bwd.py:200:26 ]
	v_lshl_add_u64 v[16:17], v[2:3], 1, s[24:25]
	.loc	1 58 21 is_stmt 1               ; attention_bwd.py:58:21 @[ attention_bwd.py:200:26 ]
	global_load_ushort v5, v[16:17], off
	.loc	1 42 37                         ; attention_bwd.py:42:37 @[ attention_bwd.py:200:26 ]
	s_lshl2_add_u32 s84, s22, s82
	.loc	1 58 21                         ; attention_bwd.py:58:21 @[ attention_bwd.py:200:26 ]
	s_and_b64 vcc, exec, s[18:19]
	.loc	1 42 19                         ; attention_bwd.py:42:19 @[ attention_bwd.py:200:26 ]
	s_ashr_i32 s85, s84, 31
	.loc	1 58 21                         ; attention_bwd.py:58:21 @[ attention_bwd.py:200:26 ]
	s_cbranch_vccz .LBB0_29
.LBB0_26:
	.loc	1 0 21 is_stmt 0                ; attention_bwd.py:0:21
	v_mov_b32_e32 v15, 0
	.loc	1 42 37 is_stmt 1               ; attention_bwd.py:42:37 @[ attention_bwd.py:200:26 ]
	s_lshl3_add_u32 s86, s22, s82
	.loc	1 58 21                         ; attention_bwd.py:58:21 @[ attention_bwd.py:200:26 ]
	s_and_b64 vcc, exec, s[18:19]
	.loc	1 42 19                         ; attention_bwd.py:42:19 @[ attention_bwd.py:200:26 ]
	s_ashr_i32 s87, s86, 31
	.loc	1 58 21                         ; attention_bwd.py:58:21 @[ attention_bwd.py:200:26 ]
	s_cbranch_vccz .LBB0_30
.LBB0_27:
	.loc	1 0 21 is_stmt 0                ; attention_bwd.py:0:21
	v_mov_b32_e32 v16, 0
	.loc	1 58 21                         ; attention_bwd.py:58:21 @[ attention_bwd.py:200:26 ]
	s_branch .LBB0_31
.LBB0_28:
	.loc	1 0 21                          ; attention_bwd.py:0:21
	v_mov_b32_e32 v5, 0
	.loc	1 42 37 is_stmt 1               ; attention_bwd.py:42:37 @[ attention_bwd.py:200:26 ]
	s_lshl2_add_u32 s84, s22, s82
	.loc	1 58 21                         ; attention_bwd.py:58:21 @[ attention_bwd.py:200:26 ]
	s_and_b64 vcc, exec, s[18:19]
	.loc	1 42 19                         ; attention_bwd.py:42:19 @[ attention_bwd.py:200:26 ]
	s_ashr_i32 s85, s84, 31
	.loc	1 58 21                         ; attention_bwd.py:58:21 @[ attention_bwd.py:200:26 ]
	s_cbranch_vccnz .LBB0_26
.LBB0_29:
	.loc	1 42 19                         ; attention_bwd.py:42:19 @[ attention_bwd.py:200:26 ]
	s_lshl_b64 s[24:25], s[84:85], 1
	s_add_u32 s24, s80, s24
	s_addc_u32 s25, s98, s25
	.loc	1 42 50 is_stmt 0               ; attention_bwd.py:42:50 @[ attention_bwd.py:200:26 ]
	v_lshl_add_u64 v[16:17], v[2:3], 1, s[24:25]
	.loc	1 58 21 is_stmt 1               ; attention_bwd.py:58:21 @[ attention_bwd.py:200:26 ]
	global_load_ushort v15, v[16:17], off
	.loc	1 42 37                         ; attention_bwd.py:42:37 @[ attention_bwd.py:200:26 ]
	s_lshl3_add_u32 s86, s22, s82
	.loc	1 58 21                         ; attention_bwd.py:58:21 @[ attention_bwd.py:200:26 ]
	s_and_b64 vcc, exec, s[18:19]
	.loc	1 42 19                         ; attention_bwd.py:42:19 @[ attention_bwd.py:200:26 ]
	s_ashr_i32 s87, s86, 31
	.loc	1 58 21                         ; attention_bwd.py:58:21 @[ attention_bwd.py:200:26 ]
	s_cbranch_vccnz .LBB0_27
.LBB0_30:
	.loc	1 42 19                         ; attention_bwd.py:42:19 @[ attention_bwd.py:200:26 ]
	s_lshl_b64 s[24:25], s[86:87], 1
	s_add_u32 s24, s80, s24
	s_addc_u32 s25, s98, s25
	.loc	1 42 50 is_stmt 0               ; attention_bwd.py:42:50 @[ attention_bwd.py:200:26 ]
	v_lshl_add_u64 v[16:17], v[2:3], 1, s[24:25]
	.loc	1 58 21 is_stmt 1               ; attention_bwd.py:58:21 @[ attention_bwd.py:200:26 ]
	global_load_ushort v16, v[16:17], off
.LBB0_31:
	.loc	1 42 37                         ; attention_bwd.py:42:37 @[ attention_bwd.py:200:26 ]
	s_mul_i32 s12, s22, 12
	s_add_i32 s88, s82, s12
	.loc	1 58 21                         ; attention_bwd.py:58:21 @[ attention_bwd.py:200:26 ]
	s_and_b64 vcc, exec, s[18:19]
	.loc	1 42 19                         ; attention_bwd.py:42:19 @[ attention_bwd.py:200:26 ]
	s_ashr_i32 s89, s88, 31
	.loc	1 58 21                         ; attention_bwd.py:58:21 @[ attention_bwd.py:200:26 ]
	s_cbranch_vccnz .LBB0_34
; %bb.32:
	.loc	1 42 19                         ; attention_bwd.py:42:19 @[ attention_bwd.py:200:26 ]
	s_lshl_b64 s[24:25], s[88:89], 1
	s_add_u32 s24, s80, s24
	s_addc_u32 s25, s98, s25
	.loc	1 42 50 is_stmt 0               ; attention_bwd.py:42:50 @[ attention_bwd.py:200:26 ]
	v_lshl_add_u64 v[18:19], v[2:3], 1, s[24:25]
	.loc	1 58 21 is_stmt 1               ; attention_bwd.py:58:21 @[ attention_bwd.py:200:26 ]
	global_load_ushort v17, v[18:19], off
	.loc	1 42 37                         ; attention_bwd.py:42:37 @[ attention_bwd.py:200:26 ]
	s_lshl4_add_u32 s90, s22, s82
	.loc	1 58 21                         ; attention_bwd.py:58:21 @[ attention_bwd.py:200:26 ]
	s_and_b64 vcc, exec, s[18:19]
	.loc	1 42 19                         ; attention_bwd.py:42:19 @[ attention_bwd.py:200:26 ]
	s_ashr_i32 s91, s90, 31
	.loc	1 58 21                         ; attention_bwd.py:58:21 @[ attention_bwd.py:200:26 ]
	s_cbranch_vccz .LBB0_35
.LBB0_33:
	.loc	1 0 21 is_stmt 0                ; attention_bwd.py:0:21
	v_mov_b32_e32 v18, 0
	.loc	1 58 21                         ; attention_bwd.py:58:21 @[ attention_bwd.py:200:26 ]
	s_branch .LBB0_36
.LBB0_34:
	.loc	1 0 21                          ; attention_bwd.py:0:21
	v_mov_b32_e32 v17, 0
	.loc	1 42 37 is_stmt 1               ; attention_bwd.py:42:37 @[ attention_bwd.py:200:26 ]
	s_lshl4_add_u32 s90, s22, s82
	.loc	1 58 21                         ; attention_bwd.py:58:21 @[ attention_bwd.py:200:26 ]
	s_and_b64 vcc, exec, s[18:19]
	.loc	1 42 19                         ; attention_bwd.py:42:19 @[ attention_bwd.py:200:26 ]
	s_ashr_i32 s91, s90, 31
	.loc	1 58 21                         ; attention_bwd.py:58:21 @[ attention_bwd.py:200:26 ]
	s_cbranch_vccnz .LBB0_33
.LBB0_35:
	.loc	1 42 19                         ; attention_bwd.py:42:19 @[ attention_bwd.py:200:26 ]
	s_lshl_b64 s[24:25], s[90:91], 1
	s_add_u32 s24, s80, s24
	s_addc_u32 s25, s98, s25
	.loc	1 42 50 is_stmt 0               ; attention_bwd.py:42:50 @[ attention_bwd.py:200:26 ]
	v_lshl_add_u64 v[18:19], v[2:3], 1, s[24:25]
	.loc	1 58 21 is_stmt 1               ; attention_bwd.py:58:21 @[ attention_bwd.py:200:26 ]
	global_load_ushort v18, v[18:19], off
.LBB0_36:
	.loc	1 42 37                         ; attention_bwd.py:42:37 @[ attention_bwd.py:200:26 ]
	s_mul_i32 s12, s22, 20
	s_add_i32 s92, s82, s12
	.loc	1 58 21                         ; attention_bwd.py:58:21 @[ attention_bwd.py:200:26 ]
	s_and_b64 vcc, exec, s[18:19]
	.loc	1 42 19                         ; attention_bwd.py:42:19 @[ attention_bwd.py:200:26 ]
	s_ashr_i32 s93, s92, 31
	.loc	1 58 21                         ; attention_bwd.py:58:21 @[ attention_bwd.py:200:26 ]
	s_cbranch_vccnz .LBB0_38
; %bb.37:
	.loc	1 42 19                         ; attention_bwd.py:42:19 @[ attention_bwd.py:200:26 ]
	s_lshl_b64 s[24:25], s[92:93], 1
	s_add_u32 s24, s80, s24
	s_addc_u32 s25, s98, s25
	.loc	1 42 50 is_stmt 0               ; attention_bwd.py:42:50 @[ attention_bwd.py:200:26 ]
	v_lshl_add_u64 v[20:21], v[2:3], 1, s[24:25]
	.loc	1 58 21 is_stmt 1               ; attention_bwd.py:58:21 @[ attention_bwd.py:200:26 ]
	global_load_ushort v19, v[20:21], off
	s_branch .LBB0_39
.LBB0_38:
	.loc	1 0 21 is_stmt 0                ; attention_bwd.py:0:21
	v_mov_b32_e32 v19, 0
.LBB0_39:
	s_load_dwordx4 s[24:27], s[0:1], 0x40
	.loc	1 42 37 is_stmt 1               ; attention_bwd.py:42:37 @[ attention_bwd.py:200:26 ]
	s_mul_i32 s12, s22, 24
	s_add_i32 s94, s82, s12
	.loc	1 58 21                         ; attention_bwd.py:58:21 @[ attention_bwd.py:200:26 ]
	s_and_b64 vcc, exec, s[18:19]
	.loc	1 42 19                         ; attention_bwd.py:42:19 @[ attention_bwd.py:200:26 ]
	s_ashr_i32 s95, s94, 31
	.loc	1 58 21                         ; attention_bwd.py:58:21 @[ attention_bwd.py:200:26 ]
	s_cbranch_vccnz .LBB0_41
; %bb.40:
	.loc	1 42 19                         ; attention_bwd.py:42:19 @[ attention_bwd.py:200:26 ]
	s_lshl_b64 s[28:29], s[94:95], 1
	s_add_u32 s28, s80, s28
	s_addc_u32 s29, s98, s29
	.loc	1 42 50 is_stmt 0               ; attention_bwd.py:42:50 @[ attention_bwd.py:200:26 ]
	v_lshl_add_u64 v[20:21], v[2:3], 1, s[28:29]
	.loc	1 58 21 is_stmt 1               ; attention_bwd.py:58:21 @[ attention_bwd.py:200:26 ]
	global_load_ushort v20, v[20:21], off
	s_branch .LBB0_42
.LBB0_41:
	.loc	1 0 21 is_stmt 0                ; attention_bwd.py:0:21
	v_mov_b32_e32 v20, 0
.LBB0_42:
	.loc	1 42 37 is_stmt 1               ; attention_bwd.py:42:37 @[ attention_bwd.py:200:26 ]
	s_mul_i32 s12, s22, 28
	s_add_i32 s96, s82, s12
	.loc	1 58 21                         ; attention_bwd.py:58:21 @[ attention_bwd.py:200:26 ]
	s_and_b64 vcc, exec, s[18:19]
	.loc	1 42 19                         ; attention_bwd.py:42:19 @[ attention_bwd.py:200:26 ]
	s_ashr_i32 s97, s96, 31
	.loc	1 58 21                         ; attention_bwd.py:58:21 @[ attention_bwd.py:200:26 ]
	s_cbranch_vccnz .LBB0_44
; %bb.43:
	.loc	1 42 19                         ; attention_bwd.py:42:19 @[ attention_bwd.py:200:26 ]
	s_lshl_b64 s[28:29], s[96:97], 1
	s_add_u32 s28, s80, s28
	s_addc_u32 s29, s98, s29
	.loc	1 42 50 is_stmt 0               ; attention_bwd.py:42:50 @[ attention_bwd.py:200:26 ]
	v_lshl_add_u64 v[2:3], v[2:3], 1, s[28:29]
	.loc	1 58 21 is_stmt 1               ; attention_bwd.py:58:21 @[ attention_bwd.py:200:26 ]
	global_load_ushort v2, v[2:3], off
	v_mov_b32_e32 v3, v10
	s_branch .LBB0_45
.Ltmp14:
.LBB0_44:
	.loc	1 0 21 is_stmt 0                ; attention_bwd.py:0:21
	v_mov_b32_e32 v2, 0
	.loc	1 200 26 is_stmt 1              ; attention_bwd.py:200:26
	v_bfrev_b32_e32 v3, 1
.LBB0_45:
	.loc	1 143 22                        ; attention_bwd.py:143:22
	s_mul_i32 s16, s81, s17
	.loc	1 143 32 is_stmt 0              ; attention_bwd.py:143:32
	s_ashr_i32 s17, s16, 31
	.loc	1 155 9 is_stmt 1               ; attention_bwd.py:155:9
	s_lshl_b64 s[78:79], s[16:17], 2
	s_waitcnt lgkmcnt(0)
	s_add_u32 s76, s24, s78
	s_addc_u32 s77, s25, s79
.Ltmp15:
	.loc	1 38 36                         ; attention_bwd.py:38:36 @[ attention_bwd.py:200:26 ]
	v_and_b32_e32 v10, 28, v10
.Ltmp16:
	.loc	1 156 9                         ; attention_bwd.py:156:9
	s_add_u32 s74, s26, s78
.Ltmp17:
	.loc	1 51 20                         ; attention_bwd.py:51:20 @[ attention_bwd.py:200:26 ]
	v_or_b32_e32 v21, 4, v10
	v_bfrev_b32_e32 v22, 1
.Ltmp18:
	.loc	1 156 9                         ; attention_bwd.py:156:9
	s_addc_u32 s75, s27, s79
.Ltmp19:
	.loc	1 51 20                         ; attention_bwd.py:51:20 @[ attention_bwd.py:200:26 ]
	s_and_b32 s29, s77, 0xffff
	s_mov_b32 s31, 0x27000
	s_mov_b32 s30, 0x7ffffffe
	;; [unrolled: 1-line block ×3, first 2 shown]
	v_cndmask_b32_e64 v21, v22, v21, s[20:21]
	v_or_b32_e32 v23, 8, v10
	v_or_b32_e32 v24, 12, v10
	;; [unrolled: 1-line block ×14, first 2 shown]
	v_cndmask_b32_e64 v23, v22, v23, s[20:21]
	v_cndmask_b32_e64 v24, v22, v24, s[20:21]
	;; [unrolled: 1-line block ×7, first 2 shown]
	buffer_load_dword v196, v21, s[28:31], 0 offen
	buffer_load_dword v195, v23, s[28:31], 0 offen
	;; [unrolled: 1-line block ×8, first 2 shown]
	v_cndmask_b32_e64 v30, v22, v30, s[20:21]
	v_cndmask_b32_e64 v31, v22, v31, s[20:21]
	;; [unrolled: 1-line block ×7, first 2 shown]
	buffer_load_dword v197, v3, s[28:31], 0 offen
	buffer_load_dword v189, v30, s[28:31], 0 offen
	;; [unrolled: 1-line block ×8, first 2 shown]
	.loc	1 64 21                         ; attention_bwd.py:64:21 @[ attention_bwd.py:200:26 ]
	s_and_b32 s29, s75, 0xffff
	s_mov_b32 s28, s74
	buffer_load_dword v105, v21, s[28:31], 0 offen
	buffer_load_dword v106, v23, s[28:31], 0 offen
	;; [unrolled: 1-line block ×16, first 2 shown]
	ds_read_b128 v[36:39], v174
	ds_read_b128 v[30:33], v175
	ds_read_b128 v[26:29], v157
	ds_read_b128 v[22:25], v162
	ds_read_b128 v[230:233], v163
	ds_read_b128 v[226:229], v164
	ds_read_b128 v[244:247], v172
	ds_read_b128 v[240:243], v203
.Ltmp20:
	.loc	1 191 37                        ; attention_bwd.py:191:37
	s_ashr_i32 s12, s81, 31
	s_lshr_b32 s12, s12, 27
	s_add_i32 s12, s81, s12
	.loc	1 171 58                        ; attention_bwd.py:171:58
	s_and_b32 s99, s9, 0xc0
	.loc	1 191 37                        ; attention_bwd.py:191:37
	s_ashr_i32 s12, s12, 5
.Ltmp21:
	.loc	1 47 25                         ; attention_bwd.py:47:25 @[ attention_bwd.py:200:26 ]
	s_cmp_gt_i32 s81, 63
	s_cselect_b64 s[20:21], -1, 0
.Ltmp22:
	.loc	1 171 58                        ; attention_bwd.py:171:58
	v_cmp_eq_u32_e64 s[16:17], 0, v6
	v_lshrrev_b32_e32 v80, 2, v6
.Ltmp23:
	.loc	1 48 21                         ; attention_bwd.py:48:21 @[ attention_bwd.py:200:26 ]
	s_waitcnt lgkmcnt(0)
	s_barrier
	s_waitcnt vmcnt(32)
	ds_write_b16 v156, v7
	ds_write_b16 v156, v8 offset:1024
	ds_write_b16 v156, v9 offset:2048
	;; [unrolled: 1-line block ×7, first 2 shown]
	.loc	1 58 21                         ; attention_bwd.py:58:21 @[ attention_bwd.py:200:26 ]
	ds_write_b16 v156, v5 offset:8192
	ds_write_b16 v156, v18 offset:12288
	;; [unrolled: 1-line block ×8, first 2 shown]
	.loc	1 47 25                         ; attention_bwd.py:47:25 @[ attention_bwd.py:200:26 ]
	s_and_b64 vcc, exec, s[20:21]
	v_lshlrev_b32_e32 v5, 6, v173
	v_and_b32_e32 v103, 12, v0
	v_lshlrev_b32_e32 v4, 3, v0
	v_lshlrev_b32_e32 v3, 1, v0
	s_cbranch_vccnz .LBB0_47
; %bb.46:                               ; %.._crit_edge_crit_edge
	.loc	1 69 26                         ; attention_bwd.py:69:26 @[ attention_bwd.py:200:26 ]
	s_lshl_b32 s15, s99, 5
	v_lshlrev_b32_e32 v126, 2, v103
	v_or3_b32 v2, s15, v5, v80
	.loc	1 48 21                         ; attention_bwd.py:48:21 @[ attention_bwd.py:200:26 ]
	v_mov_b32_e32 v6, 0x220
	.loc	1 69 26                         ; attention_bwd.py:69:26 @[ attention_bwd.py:200:26 ]
	v_or_b32_e32 v165, v2, v126
	v_bitop3_b32 v35, v2, 16, v126 bitop3:0x36
	v_bitop3_b32 v40, v2, 32, v126 bitop3:0x36
	v_bitop3_b32 v194, v2, 48, v126 bitop3:0x36
	.loc	1 48 21                         ; attention_bwd.py:48:21 @[ attention_bwd.py:200:26 ]
	v_lshlrev_b32_e32 v2, 4, v103
	v_and_b32_e32 v85, 32, v3
	v_cndmask_b32_e64 v6, v6, 0, s[16:17]
	v_and_b32_e32 v102, 24, v4
	v_bitop3_b32 v2, v6, v2, v85 bitop3:0xde
	s_movk_i32 s15, 0x110
	v_or_b32_e32 v50, v2, v102
	v_bitop3_b32 v34, v2, s15, v102 bitop3:0x36
	s_mov_b64 s[30:31], 0
	s_branch .LBB0_48
.LBB0_47:
	.loc	1 0 21 is_stmt 0                ; attention_bwd.py:0:21
	s_mov_b64 s[30:31], -1
                                        ; implicit-def: $vgpr126
                                        ; implicit-def: $vgpr165
                                        ; implicit-def: $vgpr35
                                        ; implicit-def: $vgpr40
                                        ; implicit-def: $vgpr194
                                        ; implicit-def: $vgpr102
                                        ; implicit-def: $vgpr85
                                        ; implicit-def: $vgpr50
                                        ; implicit-def: $vgpr34
.LBB0_48:                               ; %Flow1086
	s_load_dwordx2 s[28:29], s[0:1], 0x38
	v_or_b32_e32 v128, v84, v81
	v_add_u32_e32 v1, s13, v1
	s_and_b32 s81, s9, 0x100
	s_lshl_b32 s0, s22, 5
	s_add_i32 s12, s12, -1
	v_mov_b32_e32 v2, 0
	s_andn2_b64 vcc, exec, s[30:31]
	v_bfe_i32 v130, v0, 3, 1
	v_lshlrev_b32_e32 v127, 1, v173
	v_lshlrev_b32_e32 v131, 5, v0
	v_lshrrev_b32_e32 v224, 5, v1
	v_lshlrev_b64 v[222:223], 1, v[204:205]
	v_add_u32_e32 v212, 0, v128
	scratch_store_dwordx4 off, v[30:33], off offset:56 ; 16-byte Folded Spill
	scratch_store_dwordx4 off, v[26:29], off offset:40 ; 16-byte Folded Spill
	;; [unrolled: 1-line block ×4, first 2 shown]
	s_cbranch_vccnz .LBB0_52
; %bb.49:                               ; %.lr.ph
	s_lshl_b32 s9, s99, 5
	v_lshlrev_b32_e32 v14, 2, v103
	v_or3_b32 v1, s9, v5, v80
	v_bitop3_b32 v5, v1, 16, v14 bitop3:0x36
	v_and_b32_e32 v20, 24, v4
	v_mov_b32_e32 v4, 0x220
	v_or_b32_e32 v165, v1, v14
	scratch_store_dword off, v5, off offset:88 ; 4-byte Folded Spill
	v_bitop3_b32 v5, v1, 32, v14 bitop3:0x36
	v_bitop3_b32 v194, v1, 48, v14 bitop3:0x36
	v_lshlrev_b32_e32 v1, 4, v103
	v_and_b32_e32 v19, 32, v3
	v_cndmask_b32_e64 v4, v4, 0, s[16:17]
	v_bitop3_b32 v1, v4, v1, v19 bitop3:0xde
	v_mov_b32_e32 v4, 0x440
	v_or_b32_e32 v50, v1, v20
	v_bitop3_b32 v6, v1, 16, v20 bitop3:0x36
	s_movk_i32 s9, 0x60
	v_lshlrev_b32_e32 v1, 6, v103
	v_cndmask_b32_e64 v4, v4, 0, s[16:17]
	scratch_store_dword off, v5, off offset:92 ; 4-byte Folded Spill
	v_bitop3_b32 v9, v84, s9, v81 bitop3:0x36
	s_movk_i32 s9, 0x80
	v_or_b32_e32 v5, s99, v14
	v_or3_b32 v1, v1, v4, v20
	v_bitop3_b32 v10, v84, s9, v81 bitop3:0x36
	s_movk_i32 s9, 0xa0
	scratch_store_dword off, v14, off offset:364 ; 4-byte Folded Spill
	v_bitop3_b32 v14, v1, v5, v19 bitop3:0x36
	v_mov_b32_e32 v1, 0x210
	v_bitop3_b32 v11, v84, s9, v81 bitop3:0x36
	s_movk_i32 s9, 0xc0
	v_cndmask_b32_e64 v1, v1, 0, s[16:17]
	s_movk_i32 s13, 0x108
	v_bitop3_b32 v12, v84, s9, v81 bitop3:0x36
	s_movk_i32 s9, 0xe0
	v_xor_b32_e32 v4, v1, v127
	v_bitop3_b32 v5, v130, v20, s13 bitop3:0x6c
	v_bitop3_b32 v13, v84, s9, v81 bitop3:0x36
	;; [unrolled: 1-line block ×6, first 2 shown]
	v_and_b32_e32 v4, 0x80, v131
	s_lshr_b32 s9, s81, 2
	v_xor_b32_e32 v1, v5, v1
	.loc	1 47 25 is_stmt 1               ; attention_bwd.py:47:25 @[ attention_bwd.py:200:26 ]
	v_lshrrev_b32_e32 v0, 1, v0
	s_ashr_i32 s1, s0, 31
	v_or3_b32 v1, v4, v1, s9
	v_and_b32_e32 v4, 16, v0
	v_mov_b32_e32 v5, v2
	scratch_store_dword off, v19, off offset:352 ; 4-byte Folded Spill
	v_or_b32_e32 v19, v1, v19
	v_bitop3_b32 v3, v1, 32, v3 bitop3:0x34
	s_max_i32 s13, s12, 1
	v_lshl_add_u64 v[0:1], s[24:25], 0, v[4:5]
	v_lshl_add_u64 v[120:121], s[26:27], 0, v[4:5]
	s_lshl_b64 s[26:27], s[96:97], 1
	s_lshl_b64 s[24:25], s[0:1], 1
	s_add_u32 s1, s10, s24
	s_addc_u32 s9, s11, s25
	s_add_u32 s10, s1, s26
	s_addc_u32 s11, s9, s27
	v_lshl_add_u64 v[122:123], s[10:11], 0, v[82:83]
	s_lshl_b64 s[10:11], s[94:95], 1
	s_add_u32 s10, s1, s10
	s_addc_u32 s11, s9, s11
	v_lshl_add_u64 v[124:125], s[10:11], 0, v[82:83]
	s_lshl_b64 s[10:11], s[92:93], 1
	s_add_u32 s10, s1, s10
	s_addc_u32 s11, s9, s11
	scratch_store_dword off, v127, off offset:376 ; 4-byte Folded Spill
	v_lshl_add_u64 v[126:127], s[10:11], 0, v[82:83]
	s_lshl_b64 s[10:11], s[90:91], 1
	s_add_u32 s10, s1, s10
	s_addc_u32 s11, s9, s11
	scratch_store_dword off, v128, off offset:380 ; 4-byte Folded Spill
	scratch_store_dword off, v175, off offset:340 ; 4-byte Folded Spill
	;; [unrolled: 1-line block ×3, first 2 shown]
	scratch_store_dwordx2 off, v[220:221], off offset:304 ; 8-byte Folded Spill
	scratch_store_dwordx2 off, v[218:219], off offset:296 ; 8-byte Folded Spill
	;; [unrolled: 1-line block ×9, first 2 shown]
	scratch_store_dword off, v173, off offset:236 ; 4-byte Folded Spill
	scratch_store_dword off, v203, off offset:232 ; 4-byte Folded Spill
	scratch_store_dword off, v172, off offset:228 ; 4-byte Folded Spill
	scratch_store_dword off, v164, off offset:224 ; 4-byte Folded Spill
	scratch_store_dword off, v163, off offset:220 ; 4-byte Folded Spill
	scratch_store_dword off, v162, off offset:216 ; 4-byte Folded Spill
	scratch_store_dword off, v157, off offset:212 ; 4-byte Folded Spill
	v_lshl_add_u64 v[128:129], s[10:11], 0, v[82:83]
	s_lshl_b64 s[10:11], s[88:89], 1
	s_add_u32 s10, s1, s10
	s_addc_u32 s11, s9, s11
	scratch_store_dword off, v131, off offset:372 ; 4-byte Folded Spill
	scratch_store_dword off, v20, off offset:356 ; 4-byte Folded Spill
	;; [unrolled: 1-line block ×3, first 2 shown]
	v_lshl_add_u64 v[130:131], s[10:11], 0, v[82:83]
	s_lshl_b64 s[10:11], s[86:87], 1
	s_add_u32 s10, s1, s10
	s_addc_u32 s11, s9, s11
	v_lshl_add_u64 v[132:133], s[10:11], 0, v[82:83]
	s_lshl_b64 s[10:11], s[84:85], 1
	s_add_u32 s10, s1, s10
	s_addc_u32 s11, s9, s11
	v_lshl_add_u64 v[134:135], s[10:11], 0, v[82:83]
	s_lshl_b64 s[10:11], s[82:83], 1
	s_add_u32 s10, s1, s10
	v_add_u32_e32 v4, 0x70, v224
	s_addc_u32 s11, s9, s11
	v_mul_lo_u32 v4, s23, v4
	v_ashrrev_i32_e32 v5, 31, v4
	s_add_u32 s2, s2, s24
	v_lshl_add_u64 v[4:5], v[4:5], 1, v[222:223]
	s_addc_u32 s3, s3, s25
	v_lshl_add_u64 v[138:139], s[2:3], 0, v[4:5]
	v_or_b32_e32 v4, 0x60, v224
	v_mul_lo_u32 v4, s23, v4
	v_ashrrev_i32_e32 v5, 31, v4
	v_lshl_add_u64 v[4:5], v[4:5], 1, v[222:223]
	v_lshl_add_u64 v[140:141], s[2:3], 0, v[4:5]
	v_add_u32_e32 v4, 0x50, v224
	v_mul_lo_u32 v4, s23, v4
	v_ashrrev_i32_e32 v5, 31, v4
	v_lshl_add_u64 v[4:5], v[4:5], 1, v[222:223]
	v_lshl_add_u64 v[142:143], s[2:3], 0, v[4:5]
	v_or_b32_e32 v4, 64, v224
	v_mul_lo_u32 v4, s23, v4
	v_ashrrev_i32_e32 v5, 31, v4
	v_lshl_add_u64 v[4:5], v[4:5], 1, v[222:223]
	v_lshl_add_u64 v[144:145], s[2:3], 0, v[4:5]
	v_add_u32_e32 v4, 48, v224
	v_mul_lo_u32 v4, s23, v4
	v_ashrrev_i32_e32 v5, 31, v4
	v_lshl_add_u64 v[4:5], v[4:5], 1, v[222:223]
	;; [unrolled: 10-line block ×3, first 2 shown]
	v_lshl_add_u64 v[150:151], s[2:3], 0, v[4:5]
	v_mul_lo_u32 v4, s23, v224
	v_ashrrev_i32_e32 v5, 31, v4
	v_bitop3_b32 v7, v84, 32, v81 bitop3:0x36
	v_lshl_add_u64 v[4:5], v[4:5], 1, v[222:223]
	v_bitop3_b32 v8, v84, 64, v81 bitop3:0x36
	v_lshl_add_u64 v[152:153], s[2:3], 0, v[4:5]
	v_add_u32_e32 v4, 0, v7
	scratch_store_dword off, v4, off offset:176 ; 4-byte Folded Spill
	v_add_u32_e32 v4, 0, v8
	scratch_store_dword off, v4, off offset:180 ; 4-byte Folded Spill
	;; [unrolled: 2-line block ×6, first 2 shown]
	v_add_u32_e32 v4, 0, v13
	v_xor_b32_e32 v20, 0x80, v14
	scratch_store_dword off, v4, off offset:200 ; 4-byte Folded Spill
	v_add_u32_e32 v4, 0, v14
	scratch_store_dword off, v4, off offset:204 ; 4-byte Folded Spill
	v_add_u32_e32 v4, 0, v20
	v_lshl_add_u64 v[136:137], s[10:11], 0, v[82:83]
	v_add_u32_e32 v203, 0, v6
	scratch_store_dword off, v4, off offset:208 ; 4-byte Folded Spill
	v_add_u32_e32 v213, 0, v15
	v_add_u32_e32 v214, 0, v16
	;; [unrolled: 1-line block ×6, first 2 shown]
	s_mov_b64 s[2:3], 0x80
	v_mov_b32_e32 v3, v2
	v_mov_b32_e32 v4, v2
	;; [unrolled: 1-line block ×31, first 2 shown]
	s_waitcnt vmcnt(61)
	v_mov_b32_e32 v179, v76
	scratch_store_dword off, v80, off offset:324 ; 4-byte Folded Spill
	scratch_store_dword off, v81, off offset:328 ; 4-byte Folded Spill
	;; [unrolled: 1-line block ×4, first 2 shown]
	scratch_store_dwordx2 off, v[82:83], off offset:344 ; 8-byte Folded Spill
	scratch_store_dword off, v224, off offset:320 ; 4-byte Folded Spill
	scratch_store_dwordx2 off, v[222:223], off offset:312 ; 8-byte Folded Spill
	scratch_store_dwordx4 off, v[226:229], off offset:96 ; 16-byte Folded Spill
	scratch_store_dwordx4 off, v[230:233], off offset:112 ; 16-byte Folded Spill
	;; [unrolled: 1-line block ×5, first 2 shown]
.LBB0_50:                               ; =>This Inner Loop Header: Depth=1
	.loc	1 72 19                         ; attention_bwd.py:72:19 @[ attention_bwd.py:200:26 ]
	v_lshl_add_u64 v[34:35], v[152:153], 0, s[34:35]
	v_lshl_add_u64 v[36:37], v[150:151], 0, s[34:35]
	;; [unrolled: 1-line block ×3, first 2 shown]
	.loc	1 48 21                         ; attention_bwd.py:48:21 @[ attention_bwd.py:200:26 ]
	global_load_ushort v252, v[34:35], off
	global_load_ushort v219, v[36:37], off
	s_nop 0
	global_load_ushort v34, v[38:39], off
	.loc	1 72 19                         ; attention_bwd.py:72:19 @[ attention_bwd.py:200:26 ]
	v_lshl_add_u64 v[40:41], v[146:147], 0, s[34:35]
	v_lshl_add_u64 v[42:43], v[144:145], 0, s[34:35]
	;; [unrolled: 1-line block ×4, first 2 shown]
	.loc	1 73 19                         ; attention_bwd.py:73:19 @[ attention_bwd.py:200:26 ]
	v_lshl_add_u64 v[48:49], v[138:139], 0, s[34:35]
	v_mov_b32_e32 v164, v50
	.loc	1 48 21                         ; attention_bwd.py:48:21 @[ attention_bwd.py:200:26 ]
	v_add_u32_e32 v50, 0, v164
	s_waitcnt vmcnt(62)
	v_mov_b32_e32 v162, v186
	v_mov_b32_e32 v102, v187
	;; [unrolled: 1-line block ×5, first 2 shown]
	.loc	1 73 19                         ; attention_bwd.py:73:19 @[ attention_bwd.py:200:26 ]
	v_lshl_add_u64 v[60:61], v[126:127], 0, s[34:35]
	.loc	1 69 26                         ; attention_bwd.py:69:26 @[ attention_bwd.py:200:26 ]
	v_add_u32_e32 v66, 0, v165
	v_add_u32_e32 v69, 0, v194
	.loc	1 51 24                         ; attention_bwd.py:51:24 @[ attention_bwd.py:200:26 ]
	v_lshl_add_u64 v[78:79], v[0:1], 0, s[78:79]
	v_mov_b32_e32 v167, v166
	v_mov_b32_e32 v166, v176
	v_mov_b32_e32 v163, v165
	v_mov_b32_e32 v165, v194
	v_mov_b32_e32 v194, v177
	v_mov_b64_e32 v[176:177], v[96:97]
	v_mov_b64_e32 v[174:175], v[94:95]
	v_mov_b32_e32 v82, v182
	v_mov_b32_e32 v217, v183
	;; [unrolled: 1-line block ×4, first 2 shown]
	v_mov_b64_e32 v[210:211], v[160:161]
	v_mov_b64_e32 v[208:209], v[158:159]
	.loc	1 64 25                         ; attention_bwd.py:64:25 @[ attention_bwd.py:200:26 ]
	v_lshl_add_u64 v[154:155], v[120:121], 0, s[78:79]
	.loc	1 47 25                         ; attention_bwd.py:47:25 @[ attention_bwd.py:200:26 ]
	s_add_i32 s13, s13, -1
	s_cmp_lg_u32 s13, 0
	v_lshl_add_u64 v[0:1], v[0:1], 0, s[2:3]
	v_lshl_add_u64 v[120:121], v[120:121], 0, s[2:3]
	v_lshl_add_u64 v[126:127], v[126:127], 0, s[24:25]
	v_lshl_add_u64 v[138:139], v[138:139], 0, s[24:25]
	v_lshl_add_u64 v[140:141], v[140:141], 0, s[24:25]
	v_lshl_add_u64 v[142:143], v[142:143], 0, s[24:25]
	v_lshl_add_u64 v[144:145], v[144:145], 0, s[24:25]
	v_lshl_add_u64 v[146:147], v[146:147], 0, s[24:25]
	v_lshl_add_u64 v[148:149], v[148:149], 0, s[24:25]
	v_lshl_add_u64 v[150:151], v[150:151], 0, s[24:25]
	v_lshl_add_u64 v[152:153], v[152:153], 0, s[24:25]
	.loc	1 48 21                         ; attention_bwd.py:48:21 @[ attention_bwd.py:200:26 ]
	s_waitcnt vmcnt(0)
	scratch_store_dword off, v34, off       ; 4-byte Folded Spill
	global_load_ushort v34, v[40:41], off
	s_waitcnt vmcnt(0)
	scratch_store_dword off, v34, off offset:4 ; 4-byte Folded Spill
	global_load_ushort v34, v[42:43], off
	s_waitcnt vmcnt(0)
	scratch_store_dword off, v34, off offset:8 ; 4-byte Folded Spill
	;; [unrolled: 3-line block ×4, first 2 shown]
	global_load_ushort v34, v[48:49], off
	.loc	1 69 26                         ; attention_bwd.py:69:26 @[ attention_bwd.py:200:26 ]
	s_waitcnt vmcnt(0)
	scratch_store_dword off, v34, off offset:20 ; 4-byte Folded Spill
	s_waitcnt lgkmcnt(0)
	s_barrier
	.loc	1 48 21                         ; attention_bwd.py:48:21 @[ attention_bwd.py:200:26 ]
	ds_read_b64_tr_b16 v[52:53], v50
	ds_read_b64_tr_b16 v[54:55], v203 offset:256
	ds_read_b64_tr_b16 v[58:59], v203 offset:1280
	;; [unrolled: 1-line block ×3, first 2 shown]
	.loc	1 52 24                         ; attention_bwd.py:52:24 @[ attention_bwd.py:200:26 ]
	s_waitcnt lgkmcnt(2)
	v_mfma_f32_32x32x16_f16 v[34:49], v[52:55], v[98:101], 0
	.loc	1 48 21                         ; attention_bwd.py:48:21 @[ attention_bwd.py:200:26 ]
	ds_read_b64_tr_b16 v[52:53], v50 offset:2048
	ds_read_b64_tr_b16 v[54:55], v203 offset:2304
	;; [unrolled: 1-line block ×7, first 2 shown]
	.loc	1 69 26                         ; attention_bwd.py:69:26 @[ attention_bwd.py:200:26 ]
	scratch_load_dword v67, off, off offset:88 ; 4-byte Folded Reload
	scratch_load_dword v68, off, off offset:92 ; 4-byte Folded Reload
	s_waitcnt vmcnt(0)
	v_add_u32_e32 v68, 0, v68
	.loc	1 52 24                         ; attention_bwd.py:52:24 @[ attention_bwd.py:200:26 ]
	s_waitcnt lgkmcnt(7)
	v_mfma_f32_32x32x16_f16 v[34:49], v[56:59], v[86:89], v[34:49]
	.loc	1 48 21                         ; attention_bwd.py:48:21 @[ attention_bwd.py:200:26 ]
	ds_read_b64_tr_b16 v[74:75], v50 offset:5120
	ds_read_b64_tr_b16 v[228:229], v50 offset:6144
	;; [unrolled: 1-line block ×5, first 2 shown]
	.loc	1 66 24                         ; attention_bwd.py:66:24 @[ attention_bwd.py:200:26 ]
	ds_read_b128 v[86:89], v212 offset:8192
	scratch_load_dword v50, off, off offset:176 ; 4-byte Folded Reload
	.loc	1 73 19                         ; attention_bwd.py:73:19 @[ attention_bwd.py:200:26 ]
	v_lshl_add_u64 v[56:57], v[130:131], 0, s[34:35]
	v_lshl_add_u64 v[58:59], v[128:129], 0, s[34:35]
	.loc	1 47 25                         ; attention_bwd.py:47:25 @[ attention_bwd.py:200:26 ]
	v_lshl_add_u64 v[128:129], v[128:129], 0, s[24:25]
	v_lshl_add_u64 v[130:131], v[130:131], 0, s[24:25]
	.loc	1 66 24                         ; attention_bwd.py:66:24 @[ attention_bwd.py:200:26 ]
	s_waitcnt vmcnt(0)
	ds_read_b128 v[190:193], v50 offset:8192
	scratch_load_dword v50, off, off offset:180 ; 4-byte Folded Reload
	.loc	1 52 24                         ; attention_bwd.py:52:24 @[ attention_bwd.py:200:26 ]
	s_waitcnt lgkmcnt(12)
	v_mfma_f32_32x32x16_f16 v[34:49], v[52:55], v[198:201], v[34:49]
	.loc	1 73 19                         ; attention_bwd.py:73:19 @[ attention_bwd.py:200:26 ]
	v_lshl_add_u64 v[52:53], v[134:135], 0, s[34:35]
	v_lshl_add_u64 v[54:55], v[132:133], 0, s[34:35]
	.loc	1 47 25                         ; attention_bwd.py:47:25 @[ attention_bwd.py:200:26 ]
	v_lshl_add_u64 v[132:133], v[132:133], 0, s[24:25]
	v_lshl_add_u64 v[134:135], v[134:135], 0, s[24:25]
	.loc	1 66 24                         ; attention_bwd.py:66:24 @[ attention_bwd.py:200:26 ]
	s_waitcnt vmcnt(0)
	ds_read_b128 v[186:189], v50 offset:8192
	.loc	1 52 24                         ; attention_bwd.py:52:24 @[ attention_bwd.py:200:26 ]
	s_waitcnt lgkmcnt(11)
	v_mfma_f32_32x32x16_f16 v[34:49], v[62:65], v[158:161], v[34:49]
	.loc	1 73 19                         ; attention_bwd.py:73:19 @[ attention_bwd.py:200:26 ]
	v_lshl_add_u64 v[50:51], v[136:137], 0, s[34:35]
	v_lshl_add_u64 v[62:63], v[124:125], 0, s[34:35]
	.loc	1 48 21                         ; attention_bwd.py:48:21 @[ attention_bwd.py:200:26 ]
	v_lshl_add_u64 v[64:65], v[122:123], 0, s[34:35]
	.loc	1 47 25                         ; attention_bwd.py:47:25 @[ attention_bwd.py:200:26 ]
	v_lshl_add_u64 v[122:123], v[122:123], 0, s[24:25]
	v_lshl_add_u64 v[124:125], v[124:125], 0, s[24:25]
	;; [unrolled: 1-line block ×3, first 2 shown]
	.loc	1 52 24                         ; attention_bwd.py:52:24 @[ attention_bwd.py:200:26 ]
	s_waitcnt lgkmcnt(9)
	v_mfma_f32_32x32x16_f16 v[34:49], v[70:73], v[94:97], v[34:49]
	s_waitcnt lgkmcnt(7)
	v_mfma_f32_32x32x16_f16 v[34:49], v[74:77], v[90:93], v[34:49]
	s_waitcnt lgkmcnt(5)
	v_mfma_f32_32x32x16_f16 v[34:49], v[228:231], v[168:171], v[34:49]
	.loc	1 66 24                         ; attention_bwd.py:66:24 @[ attention_bwd.py:200:26 ]
	scratch_load_dwordx4 v[168:171], off, off offset:72 ; 16-byte Folded Reload
	.loc	1 69 26                         ; attention_bwd.py:69:26 @[ attention_bwd.py:200:26 ]
	v_add_u32_e32 v67, 0, v67
	ds_read_b64 v[224:225], v66
	ds_read_b64 v[226:227], v67
	;; [unrolled: 1-line block ×4, first 2 shown]
	.loc	1 51 20                         ; attention_bwd.py:51:20 @[ attention_bwd.py:200:26 ]
	global_load_dwordx4 v[66:69], v[78:79], off offset:128
	global_load_dwordx4 v[70:73], v[78:79], off offset:160
	;; [unrolled: 1-line block ×3, first 2 shown]
	s_nop 0
	global_load_dwordx4 v[78:81], v[78:79], off offset:224
	.loc	1 58 21                         ; attention_bwd.py:58:21 @[ attention_bwd.py:200:26 ]
	s_nop 0
	global_load_ushort v202, v[50:51], off
	global_load_ushort v253, v[52:53], off
	;; [unrolled: 1-line block ×8, first 2 shown]
	.loc	1 66 24                         ; attention_bwd.py:66:24 @[ attention_bwd.py:200:26 ]
	scratch_load_dword v50, off, off offset:184 ; 4-byte Folded Reload
	s_waitcnt vmcnt(0)
	ds_read_b128 v[90:93], v50 offset:8192
	scratch_load_dword v50, off, off offset:188 ; 4-byte Folded Reload
	.loc	1 52 24                         ; attention_bwd.py:52:24 @[ attention_bwd.py:200:26 ]
	s_waitcnt lgkmcnt(8)
	v_mfma_f32_32x32x16_f16 v[34:49], v[232:235], v[236:239], v[34:49]
	.loc	1 66 24                         ; attention_bwd.py:66:24 @[ attention_bwd.py:200:26 ]
	s_waitcnt vmcnt(0)
	ds_read_b128 v[94:97], v50 offset:8192
	scratch_load_dword v50, off, off offset:192 ; 4-byte Folded Reload
	.loc	1 53 32                         ; attention_bwd.py:53:32 @[ attention_bwd.py:200:26 ]
	s_nop 8
	v_sub_f32_e32 v197, v34, v197
	v_sub_f32_e32 v196, v35, v196
	;; [unrolled: 1-line block ×3, first 2 shown]
	.loc	1 66 24                         ; attention_bwd.py:66:24 @[ attention_bwd.py:200:26 ]
	s_waitcnt vmcnt(0)
	ds_read_b128 v[182:185], v50 offset:8192
	scratch_load_dword v50, off, off offset:196 ; 4-byte Folded Reload
	s_waitcnt vmcnt(0)
	ds_read_b128 v[158:161], v50 offset:8192
	scratch_load_dword v50, off, off offset:200 ; 4-byte Folded Reload
	;; [unrolled: 3-line block ×3, first 2 shown]
	.loc	1 58 21                         ; attention_bwd.py:58:21 @[ attention_bwd.py:200:26 ]
	s_waitcnt vmcnt(0)
	ds_read_b64_tr_b16 v[232:233], v50 offset:8192
	ds_read_b64_tr_b16 v[228:229], v50 offset:12288
	scratch_load_dword v50, off, off offset:208 ; 4-byte Folded Reload
	s_waitcnt vmcnt(0)
	ds_read_b64_tr_b16 v[234:235], v50 offset:10240
	ds_read_b64_tr_b16 v[230:231], v50 offset:14336
	.loc	1 66 24                         ; attention_bwd.py:66:24 @[ attention_bwd.py:200:26 ]
	s_waitcnt lgkmcnt(14)
	v_mfma_f32_32x32x16_f16 v[50:65], v[86:89], v[168:171], 0
	scratch_load_dwordx4 v[86:89], off, off offset:56 ; 16-byte Folded Reload
	s_waitcnt vmcnt(0)
	v_mfma_f32_32x32x16_f16 v[50:65], v[190:193], v[86:89], v[50:65]
	scratch_load_dwordx4 v[86:89], off, off offset:40 ; 16-byte Folded Reload
	.loc	1 53 32                         ; attention_bwd.py:53:32 @[ attention_bwd.py:200:26 ]
	v_sub_f32_e32 v193, v37, v180
	v_sub_f32_e32 v191, v38, v181
	;; [unrolled: 1-line block ×4, first 2 shown]
	v_mov_b32_e32 v180, v77
	v_mov_b32_e32 v179, v76
	.loc	1 66 24                         ; attention_bwd.py:66:24 @[ attention_bwd.py:200:26 ]
	s_waitcnt vmcnt(0) lgkmcnt(13)
	v_mfma_f32_32x32x16_f16 v[50:65], v[186:189], v[86:89], v[50:65]
	scratch_load_dwordx4 v[86:89], off, off offset:24 ; 16-byte Folded Reload
	.loc	1 53 32                         ; attention_bwd.py:53:32 @[ attention_bwd.py:200:26 ]
	v_sub_f32_e32 v189, v39, v102
	v_sub_f32_e32 v187, v40, v84
	v_sub_f32_e32 v188, v46, v162
	v_sub_f32_e32 v186, v47, v83
	v_mov_b32_e32 v181, v70
	.loc	1 66 24                         ; attention_bwd.py:66:24 @[ attention_bwd.py:200:26 ]
	s_waitcnt vmcnt(0) lgkmcnt(8)
	v_mfma_f32_32x32x16_f16 v[50:65], v[90:93], v[86:89], v[50:65]
	scratch_load_dwordx4 v[86:89], off, off offset:112 ; 16-byte Folded Reload
	s_waitcnt vmcnt(0) lgkmcnt(7)
	v_mfma_f32_32x32x16_f16 v[50:65], v[94:97], v[86:89], v[50:65]
	scratch_load_dwordx4 v[86:89], off, off offset:96 ; 16-byte Folded Reload
	v_mov_b64_e32 v[94:95], v[174:175]
	v_mov_b64_e32 v[96:97], v[176:177]
	v_mov_b32_e32 v176, v166
	v_mov_b32_e32 v166, v167
	;; [unrolled: 1-line block ×3, first 2 shown]
	s_waitcnt vmcnt(0) lgkmcnt(6)
	v_mfma_f32_32x32x16_f16 v[50:65], v[182:185], v[86:89], v[50:65]
	.loc	1 53 32                         ; attention_bwd.py:53:32 @[ attention_bwd.py:200:26 ]
	v_sub_f32_e32 v183, v42, v194
	v_sub_f32_e32 v194, v43, v103
	;; [unrolled: 1-line block ×5, first 2 shown]
	v_mov_b32_e32 v251, v81
	.loc	1 66 24                         ; attention_bwd.py:66:24 @[ attention_bwd.py:200:26 ]
	s_waitcnt lgkmcnt(5)
	v_mfma_f32_32x32x16_f16 v[50:65], v[158:161], v[244:247], v[50:65]
	v_mov_b64_e32 v[158:159], v[208:209]
	v_mov_b64_e32 v[160:161], v[210:211]
	s_waitcnt lgkmcnt(4)
	v_mfma_f32_32x32x16_f16 v[50:65], v[204:207], v[240:243], v[50:65]
	.loc	1 67 26                         ; attention_bwd.py:67:26 @[ attention_bwd.py:200:26 ]
	s_nop 11
	v_pk_add_f32 v[34:35], v[50:51], v[104:105] neg_lo:[0,1] neg_hi:[0,1]
	.loc	1 53 26                         ; attention_bwd.py:53:26 @[ attention_bwd.py:200:26 ]
	v_exp_f32_e32 v50, v197
	v_exp_f32_e32 v51, v196
	.loc	1 67 26                         ; attention_bwd.py:67:26 @[ attention_bwd.py:200:26 ]
	v_pk_add_f32 v[42:43], v[58:59], v[112:113] neg_lo:[0,1] neg_hi:[0,1]
	.loc	1 53 26                         ; attention_bwd.py:53:26 @[ attention_bwd.py:200:26 ]
	v_exp_f32_e32 v58, v183
	v_exp_f32_e32 v59, v194
	.loc	1 67 26                         ; attention_bwd.py:67:26 @[ attention_bwd.py:200:26 ]
	v_pk_add_f32 v[36:37], v[52:53], v[106:107] neg_lo:[0,1] neg_hi:[0,1]
	v_pk_add_f32 v[38:39], v[54:55], v[108:109] neg_lo:[0,1] neg_hi:[0,1]
	v_pk_add_f32 v[40:41], v[56:57], v[110:111] neg_lo:[0,1] neg_hi:[0,1]
	v_pk_add_f32 v[44:45], v[60:61], v[114:115] neg_lo:[0,1] neg_hi:[0,1]
	v_pk_add_f32 v[46:47], v[62:63], v[116:117] neg_lo:[0,1] neg_hi:[0,1]
	v_pk_add_f32 v[48:49], v[64:65], v[118:119] neg_lo:[0,1] neg_hi:[0,1]
	.loc	1 53 26                         ; attention_bwd.py:53:26 @[ attention_bwd.py:200:26 ]
	v_exp_f32_e32 v52, v195
	v_exp_f32_e32 v53, v193
	v_exp_f32_e32 v54, v191
	v_exp_f32_e32 v55, v189
	v_exp_f32_e32 v56, v187
	v_exp_f32_e32 v57, v185
	v_exp_f32_e32 v60, v192
	v_exp_f32_e32 v61, v190
	v_exp_f32_e32 v62, v188
	v_exp_f32_e32 v63, v186
	v_exp_f32_e32 v64, v184
	v_exp_f32_e32 v65, v182
	.loc	1 61 21                         ; attention_bwd.py:61:21 @[ attention_bwd.py:200:26 ]
	v_cvt_f16_f32_e32 v104, v50
	v_cvt_f16_f32_e32 v105, v51
	;; [unrolled: 1-line block ×4, first 2 shown]
	.loc	1 67 20                         ; attention_bwd.py:67:20 @[ attention_bwd.py:200:26 ]
	v_pk_mul_f32 v[34:35], v[50:51], v[34:35]
	.loc	1 61 21                         ; attention_bwd.py:61:21 @[ attention_bwd.py:200:26 ]
	v_cvt_f16_f32_e32 v108, v52
	v_cvt_f16_f32_e32 v109, v53
	;; [unrolled: 1-line block ×12, first 2 shown]
	.loc	1 68 21                         ; attention_bwd.py:68:21 @[ attention_bwd.py:200:26 ]
	v_cvt_f16_f32_e32 v34, v34
	.loc	1 61 21                         ; attention_bwd.py:61:21 @[ attention_bwd.py:200:26 ]
	ds_write_b16 v213, v104 offset:16384
	ds_write_b16 v213, v105 offset:16512
	;; [unrolled: 1-line block ×16, first 2 shown]
	s_waitcnt lgkmcnt(0)
	s_barrier
	ds_read_b64_tr_b16 v[86:87], v85 offset:16384
	ds_read_b64_tr_b16 v[90:91], v85 offset:18432
	;; [unrolled: 1-line block ×4, first 2 shown]
	.loc	1 67 20                         ; attention_bwd.py:67:20 @[ attention_bwd.py:200:26 ]
	v_pk_mul_f32 v[42:43], v[58:59], v[42:43]
	.loc	1 68 21                         ; attention_bwd.py:68:21 @[ attention_bwd.py:200:26 ]
	v_cvt_f16_f32_e32 v35, v35
	.loc	1 67 20                         ; attention_bwd.py:67:20 @[ attention_bwd.py:200:26 ]
	v_pk_mul_f32 v[36:37], v[52:53], v[36:37]
	v_pk_mul_f32 v[38:39], v[54:55], v[38:39]
	;; [unrolled: 1-line block ×3, first 2 shown]
	.loc	1 68 21                         ; attention_bwd.py:68:21 @[ attention_bwd.py:200:26 ]
	v_cvt_f16_f32_e32 v42, v42
	.loc	1 67 20                         ; attention_bwd.py:67:20 @[ attention_bwd.py:200:26 ]
	v_pk_mul_f32 v[44:45], v[60:61], v[44:45]
	v_pk_mul_f32 v[46:47], v[62:63], v[46:47]
	;; [unrolled: 1-line block ×3, first 2 shown]
	.loc	1 68 21                         ; attention_bwd.py:68:21 @[ attention_bwd.py:200:26 ]
	v_cvt_f16_f32_e32 v43, v43
	v_cvt_f16_f32_e32 v36, v36
	;; [unrolled: 1-line block ×13, first 2 shown]
	.loc	1 64 21                         ; attention_bwd.py:64:21 @[ attention_bwd.py:200:26 ]
	global_load_dwordx4 v[50:53], v[154:155], off offset:128
	global_load_dwordx4 v[54:57], v[154:155], off offset:160
	;; [unrolled: 1-line block ×4, first 2 shown]
	.loc	1 68 21                         ; attention_bwd.py:68:21 @[ attention_bwd.py:200:26 ]
	s_waitcnt lgkmcnt(0)
	s_barrier
	ds_write_b16 v213, v34 offset:16384
	ds_write_b16 v213, v35 offset:16512
	;; [unrolled: 1-line block ×16, first 2 shown]
	s_waitcnt lgkmcnt(0)
	.loc	1 62 26                         ; attention_bwd.py:62:26 @[ attention_bwd.py:200:26 ]
	v_mfma_f32_32x32x16_f16 v[2:17], v[232:235], v[86:89], v[2:17]
	scratch_load_dwordx4 v[86:89], off, off offset:128 ; 16-byte Folded Reload
	.loc	1 68 21                         ; attention_bwd.py:68:21 @[ attention_bwd.py:200:26 ]
	s_barrier
	ds_read_b64_tr_b16 v[34:35], v85 offset:16384
	ds_read_b64_tr_b16 v[36:37], v218 offset:17408
	;; [unrolled: 1-line block ×4, first 2 shown]
	v_mov_b32_e32 v194, v165
	v_mov_b32_e32 v165, v163
	;; [unrolled: 1-line block ×4, first 2 shown]
	.loc	1 69 26                         ; attention_bwd.py:69:26 @[ attention_bwd.py:200:26 ]
	s_waitcnt lgkmcnt(2)
	v_mfma_f32_32x32x16_f16 v[18:33], v[224:227], v[34:37], v[18:33]
	.loc	1 48 21                         ; attention_bwd.py:48:21 @[ attention_bwd.py:200:26 ]
	scratch_load_dword v34, off, off        ; 4-byte Folded Reload
	v_mov_b32_e32 v186, v78
	v_mov_b32_e32 v189, v75
	;; [unrolled: 1-line block ×6, first 2 shown]
	.loc	1 62 26                         ; attention_bwd.py:62:26 @[ attention_bwd.py:200:26 ]
	v_mfma_f32_32x32x16_f16 v[2:17], v[228:231], v[90:93], v[2:17]
	scratch_load_dwordx4 v[90:93], off, off offset:160 ; 16-byte Folded Reload
	scratch_load_dwordx4 v[168:171], off, off offset:144 ; 16-byte Folded Reload
	v_mov_b32_e32 v195, v68
	v_mov_b32_e32 v196, v67
	;; [unrolled: 1-line block ×3, first 2 shown]
	.loc	1 48 21                         ; attention_bwd.py:48:21 @[ attention_bwd.py:200:26 ]
	ds_write_b16 v156, v252
	ds_write_b16 v156, v219 offset:1024
	.loc	1 58 21                         ; attention_bwd.py:58:21 @[ attention_bwd.py:200:26 ]
	ds_write_b16 v156, v248 offset:12288
	ds_write_b16 v176, v253 offset:9216
	;; [unrolled: 1-line block ×7, first 2 shown]
	s_waitcnt vmcnt(7)
	v_mov_b32_e32 v104, v50
	.loc	1 69 26                         ; attention_bwd.py:69:26 @[ attention_bwd.py:200:26 ]
	s_waitcnt lgkmcnt(9)
	v_mfma_f32_32x32x16_f16 v[18:33], v[220:223], v[38:41], v[18:33]
	v_mov_b32_e32 v50, v164
	v_mov_b32_e32 v105, v51
	v_mov_b32_e32 v106, v52
	v_mov_b32_e32 v107, v53
	s_waitcnt vmcnt(6)
	v_mov_b32_e32 v108, v54
	v_mov_b32_e32 v109, v55
	v_mov_b32_e32 v110, v56
	v_mov_b32_e32 v111, v57
	s_waitcnt vmcnt(5)
	;; [unrolled: 5-line block ×3, first 2 shown]
	v_mov_b32_e32 v116, v62
	v_mov_b32_e32 v117, v63
	;; [unrolled: 1-line block ×3, first 2 shown]
	.loc	1 48 21                         ; attention_bwd.py:48:21 @[ attention_bwd.py:200:26 ]
	s_waitcnt vmcnt(2)
	ds_write_b16 v156, v34 offset:2048
	scratch_load_dword v34, off, off offset:4 ; 4-byte Folded Reload
	v_mov_b32_e32 v119, v65
	s_waitcnt vmcnt(0)
	ds_write_b16 v156, v34 offset:3072
	scratch_load_dword v34, off, off offset:8 ; 4-byte Folded Reload
	s_waitcnt vmcnt(0)
	ds_write_b16 v156, v34 offset:4096
	scratch_load_dword v34, off, off offset:12 ; 4-byte Folded Reload
	;; [unrolled: 3-line block ×4, first 2 shown]
	s_waitcnt vmcnt(0)
	ds_write_b16 v156, v34 offset:7168
	.loc	1 58 21                         ; attention_bwd.py:58:21 @[ attention_bwd.py:200:26 ]
	ds_write_b16 v156, v202 offset:8192
	.loc	1 47 25                         ; attention_bwd.py:47:25 @[ attention_bwd.py:200:26 ]
	s_cbranch_scc1 .LBB0_50
; %bb.51:                               ; %._crit_edge.loopexit
	.loc	1 0 25 is_stmt 0                ; attention_bwd.py:0:25
	v_mov_b32_e32 v251, v81
	v_mov_b32_e32 v182, v80
	scratch_load_dword v157, off, off offset:212 ; 4-byte Folded Reload
	scratch_load_dword v162, off, off offset:216 ; 4-byte Folded Reload
	;; [unrolled: 1-line block ×7, first 2 shown]
	scratch_load_dwordx2 v[204:205], off, off offset:240 ; 8-byte Folded Reload
	scratch_load_dwordx2 v[206:207], off, off offset:248 ; 8-byte Folded Reload
	scratch_load_dwordx2 v[208:209], off, off offset:256 ; 8-byte Folded Reload
	scratch_load_dwordx2 v[210:211], off, off offset:264 ; 8-byte Folded Reload
	scratch_load_dwordx2 v[178:179], off, off offset:272 ; 8-byte Folded Reload
	scratch_load_dwordx2 v[214:215], off, off offset:280 ; 8-byte Folded Reload
	scratch_load_dwordx2 v[216:217], off, off offset:288 ; 8-byte Folded Reload
	scratch_load_dwordx2 v[218:219], off, off offset:296 ; 8-byte Folded Reload
	scratch_load_dwordx2 v[220:221], off, off offset:304 ; 8-byte Folded Reload
	scratch_load_dwordx2 v[222:223], off, off offset:312 ; 8-byte Folded Reload
	scratch_load_dword v224, off, off offset:320 ; 4-byte Folded Reload
	scratch_load_dword v80, off, off offset:324 ; 4-byte Folded Reload
	;; [unrolled: 1-line block ×6, first 2 shown]
	scratch_load_dwordx2 v[82:83], off, off offset:344 ; 8-byte Folded Reload
	scratch_load_dwordx4 v[226:229], off, off offset:96 ; 16-byte Folded Reload
	scratch_load_dwordx4 v[230:233], off, off offset:112 ; 16-byte Folded Reload
	scratch_load_dword v85, off, off offset:352 ; 4-byte Folded Reload
	scratch_load_dword v102, off, off offset:356 ; 4-byte Folded Reload
	;; [unrolled: 1-line block ×10, first 2 shown]
	v_xor_b32_e32 v34, 0x110, v50
	v_mov_b32_e32 v184, v79
	v_mov_b32_e32 v186, v78
	;; [unrolled: 1-line block ×13, first 2 shown]
	s_branch .LBB0_53
.LBB0_52:
	v_mov_b32_e32 v33, 0
	v_mov_b32_e32 v32, v33
	;; [unrolled: 1-line block ×32, first 2 shown]
.LBB0_53:                               ; %._crit_edge
	.loc	1 69 26 is_stmt 1               ; attention_bwd.py:69:26 @[ attention_bwd.py:200:26 ]
	v_add_u32_e32 v120, 0, v165
	s_waitcnt vmcnt(0)
	v_add_u32_e32 v121, 0, v35
	v_add_u32_e32 v122, 0, v40
	;; [unrolled: 1-line block ×3, first 2 shown]
	.loc	1 52 24                         ; attention_bwd.py:52:24 @[ attention_bwd.py:200:26 ]
	s_and_b64 vcc, exec, s[18:19]
	v_add_u32_e32 v125, 0, v50
	v_add_u32_e32 v124, 0, v34
	.loc	1 69 26                         ; attention_bwd.py:69:26 @[ attention_bwd.py:200:26 ]
	s_waitcnt lgkmcnt(0)
	s_barrier
	.loc	1 52 24                         ; attention_bwd.py:52:24 @[ attention_bwd.py:200:26 ]
	s_cbranch_vccnz .LBB0_55
; %bb.54:
	.loc	1 0 0 is_stmt 0                 ; attention_bwd.py:0 @[ attention_bwd.py:200:26 ]
	ds_read_b64_tr_b16 v[52:53], v124
	ds_read_b64_tr_b16 v[50:51], v125
	ds_read_b64_tr_b16 v[54:55], v125 offset:1024
	ds_read_b64_tr_b16 v[58:59], v125 offset:2048
	;; [unrolled: 1-line block ×6, first 2 shown]
	.loc	1 52 24                         ; attention_bwd.py:52:24 @[ attention_bwd.py:200:26 ]
	s_waitcnt lgkmcnt(6)
	v_mfma_f32_32x32x16_f16 v[34:49], v[50:53], v[98:101], 0
	.loc	1 0 0                           ; attention_bwd.py:0 @[ attention_bwd.py:200:26 ]
	ds_read_b64_tr_b16 v[52:53], v124 offset:4096
	.loc	1 52 24                         ; attention_bwd.py:52:24 @[ attention_bwd.py:200:26 ]
	s_waitcnt lgkmcnt(3)
	v_mfma_f32_32x32x16_f16 v[34:49], v[54:57], v[86:89], v[34:49]
	s_waitcnt lgkmcnt(2)
	v_mfma_f32_32x32x16_f16 v[34:49], v[58:61], v[198:201], v[34:49]
	;; [unrolled: 2-line block ×3, first 2 shown]
	.loc	1 0 0                           ; attention_bwd.py:0 @[ attention_bwd.py:200:26 ]
	ds_read_b64_tr_b16 v[50:51], v125 offset:4096
	ds_read_b64_tr_b16 v[54:55], v125 offset:5120
	;; [unrolled: 1-line block ×7, first 2 shown]
	.loc	1 52 24                         ; attention_bwd.py:52:24 @[ attention_bwd.py:200:26 ]
	s_waitcnt lgkmcnt(6)
	v_mfma_f32_32x32x16_f16 v[34:49], v[50:53], v[94:97], v[34:49]
	s_waitcnt lgkmcnt(2)
	v_mfma_f32_32x32x16_f16 v[34:49], v[54:57], v[90:93], v[34:49]
	;; [unrolled: 2-line block ×4, first 2 shown]
	s_branch .LBB0_56
.Ltmp24:
.LBB0_55:
	.loc	1 200 26 is_stmt 1              ; attention_bwd.py:200:26
	v_mov_b32_e32 v34, 0
	v_mov_b32_e32 v35, 0
	v_mov_b32_e32 v36, 0
	v_mov_b32_e32 v37, 0
	v_mov_b32_e32 v38, 0
	v_mov_b32_e32 v39, 0
	v_mov_b32_e32 v40, 0
	v_mov_b32_e32 v41, 0
	v_mov_b32_e32 v42, 0
	v_mov_b32_e32 v43, 0
	v_mov_b32_e32 v44, 0
	v_mov_b32_e32 v45, 0
	v_mov_b32_e32 v46, 0
	v_mov_b32_e32 v47, 0
	v_mov_b32_e32 v48, 0
	v_mov_b32_e32 v49, 0
.LBB0_56:
.Ltmp25:
	.loc	1 53 32                         ; attention_bwd.py:53:32 @[ attention_bwd.py:200:26 ]
	s_nop 10
	v_sub_f32_e32 v0, v34, v197
	v_sub_f32_e32 v34, v36, v195
	;; [unrolled: 1-line block ×8, first 2 shown]
	.loc	1 53 26 is_stmt 0               ; attention_bwd.py:53:26 @[ attention_bwd.py:200:26 ]
	v_exp_f32_e32 v76, v34
	.loc	1 66 24 is_stmt 1               ; attention_bwd.py:66:24 @[ attention_bwd.py:200:26 ]
	v_xad_u32 v34, v128, 32, 0
	s_movk_i32 s1, 0x60
	.loc	1 53 26                         ; attention_bwd.py:53:26 @[ attention_bwd.py:200:26 ]
	v_exp_f32_e32 v77, v35
	.loc	1 66 24                         ; attention_bwd.py:66:24 @[ attention_bwd.py:200:26 ]
	v_xad_u32 v35, v128, 64, 0
	ds_read_b128 v[148:151], v34 offset:8192
	ds_read_b128 v[144:147], v35 offset:8192
	v_bitop3_b32 v34, v84, s1, v81 bitop3:0x36
	s_movk_i32 s1, 0x80
	v_add_u32_e32 v34, 0, v34
	v_bitop3_b32 v35, v84, s1, v81 bitop3:0x36
	s_movk_i32 s1, 0xa0
	.loc	1 53 32                         ; attention_bwd.py:53:32 @[ attention_bwd.py:200:26 ]
	v_sub_f32_e32 v37, v39, v187
	v_sub_f32_e32 v39, v41, v183
	;; [unrolled: 1-line block ×7, first 2 shown]
	.loc	1 66 24                         ; attention_bwd.py:66:24 @[ attention_bwd.py:200:26 ]
	v_add_u32_e32 v35, 0, v35
	ds_read_b128 v[182:185], v34 offset:8192
	ds_read_b128 v[152:155], v35 offset:8192
	v_bitop3_b32 v34, v84, s1, v81 bitop3:0x36
	s_movk_i32 s1, 0xc0
	v_bitop3_b32 v35, v84, s1, v81 bitop3:0x36
	.loc	1 53 26                         ; attention_bwd.py:53:26 @[ attention_bwd.py:200:26 ]
	v_exp_f32_e32 v74, v36
	.loc	1 66 24                         ; attention_bwd.py:66:24 @[ attention_bwd.py:200:26 ]
	v_add_u32_e32 v34, 0, v34
	v_add_u32_e32 v35, 0, v35
	.loc	1 58 21                         ; attention_bwd.py:58:21 @[ attention_bwd.py:200:26 ]
	v_mov_b32_e32 v36, 0x440
	.loc	1 66 24                         ; attention_bwd.py:66:24 @[ attention_bwd.py:200:26 ]
	ds_read_b128 v[190:193], v34 offset:8192
	ds_read_b128 v[186:189], v35 offset:8192
	s_movk_i32 s1, 0xe0
	.loc	1 58 21                         ; attention_bwd.py:58:21 @[ attention_bwd.py:200:26 ]
	v_lshlrev_b32_e32 v35, 6, v103
	v_cndmask_b32_e64 v36, v36, 0, s[16:17]
	.loc	1 53 26                         ; attention_bwd.py:53:26 @[ attention_bwd.py:200:26 ]
	v_exp_f32_e32 v75, v37
	.loc	1 66 24                         ; attention_bwd.py:66:24 @[ attention_bwd.py:200:26 ]
	v_bitop3_b32 v34, v84, s1, v81 bitop3:0x36
	.loc	1 58 21                         ; attention_bwd.py:58:21 @[ attention_bwd.py:200:26 ]
	v_or_b32_e32 v37, s99, v126
	v_or3_b32 v35, v35, v36, v102
	.loc	1 66 24                         ; attention_bwd.py:66:24 @[ attention_bwd.py:200:26 ]
	v_add_u32_e32 v34, 0, v34
	.loc	1 58 21                         ; attention_bwd.py:58:21 @[ attention_bwd.py:200:26 ]
	v_bitop3_b32 v35, v35, v37, v85 bitop3:0x36
	v_add_u32_e32 v36, 0, v35
	.loc	1 66 24                         ; attention_bwd.py:66:24 @[ attention_bwd.py:200:26 ]
	ds_read_b128 v[194:197], v34 offset:8192
	.loc	1 58 21                         ; attention_bwd.py:58:21 @[ attention_bwd.py:200:26 ]
	ds_read_b64_tr_b16 v[50:51], v36 offset:8192
	v_xor_b32_e32 v34, 0x880, v35
	.loc	1 53 26                         ; attention_bwd.py:53:26 @[ attention_bwd.py:200:26 ]
	v_exp_f32_e32 v78, v0
	.loc	1 58 21                         ; attention_bwd.py:58:21 @[ attention_bwd.py:200:26 ]
	v_add_u32_e32 v34, 0, v34
	.loc	1 53 26                         ; attention_bwd.py:53:26 @[ attention_bwd.py:200:26 ]
	v_exp_f32_e32 v79, v1
	.loc	1 58 21                         ; attention_bwd.py:58:21 @[ attention_bwd.py:200:26 ]
	ds_read_b64_tr_b16 v[54:55], v36 offset:12288
	ds_read_b64_tr_b16 v[52:53], v34 offset:8192
	;; [unrolled: 1-line block ×3, first 2 shown]
	.loc	1 61 21                         ; attention_bwd.py:61:21 @[ attention_bwd.py:200:26 ]
	v_mov_b32_e32 v34, 0x210
	.loc	1 53 26                         ; attention_bwd.py:53:26 @[ attention_bwd.py:200:26 ]
	v_exp_f32_e32 v70, v40
	.loc	1 61 21                         ; attention_bwd.py:61:21 @[ attention_bwd.py:200:26 ]
	v_cndmask_b32_e64 v34, v34, 0, s[16:17]
	.loc	1 53 26                         ; attention_bwd.py:53:26 @[ attention_bwd.py:200:26 ]
	v_exp_f32_e32 v71, v41
	.loc	1 61 21                         ; attention_bwd.py:61:21 @[ attention_bwd.py:200:26 ]
	v_bitop3_b32 v36, s33, v34, v127 bitop3:0xf6
	v_add_u32_e32 v126, 0, v36
	v_cvt_f16_f32_e32 v36, v78
	v_cvt_f16_f32_e32 v37, v79
	.loc	1 53 26                         ; attention_bwd.py:53:26 @[ attention_bwd.py:200:26 ]
	v_exp_f32_e32 v72, v38
	.loc	1 61 21                         ; attention_bwd.py:61:21 @[ attention_bwd.py:200:26 ]
	v_cvt_f16_f32_e32 v38, v70
	.loc	1 53 26                         ; attention_bwd.py:53:26 @[ attention_bwd.py:200:26 ]
	v_exp_f32_e32 v73, v39
	v_exp_f32_e32 v68, v42
	.loc	1 61 21                         ; attention_bwd.py:61:21 @[ attention_bwd.py:200:26 ]
	v_xor_b32_e32 v35, v34, v127
	v_cvt_f16_f32_e32 v39, v71
	.loc	1 0 0 is_stmt 0                 ; attention_bwd.py:0 @[ attention_bwd.py:200:26 ]
	ds_read_b64 v[136:137], v120
	ds_read_b64 v[138:139], v121
	;; [unrolled: 1-line block ×4, first 2 shown]
	.loc	1 53 26 is_stmt 1               ; attention_bwd.py:53:26 @[ attention_bwd.py:200:26 ]
	v_exp_f32_e32 v69, v43
	.loc	1 61 21                         ; attention_bwd.py:61:21 @[ attention_bwd.py:200:26 ]
	ds_write_b16 v126, v36 offset:16384
	ds_write_b16 v126, v37 offset:16512
	;; [unrolled: 1-line block ×4, first 2 shown]
	v_bitop3_b32 v36, s33, 8, v35 bitop3:0x36
	v_add_u32_e32 v127, 0, v36
	v_cvt_f16_f32_e32 v36, v76
	v_cvt_f16_f32_e32 v37, v77
	;; [unrolled: 1-line block ×3, first 2 shown]
	.loc	1 53 26                         ; attention_bwd.py:53:26 @[ attention_bwd.py:200:26 ]
	v_exp_f32_e32 v66, v44
	.loc	1 61 21                         ; attention_bwd.py:61:21 @[ attention_bwd.py:200:26 ]
	v_cvt_f16_f32_e32 v39, v69
	.loc	1 53 26                         ; attention_bwd.py:53:26 @[ attention_bwd.py:200:26 ]
	v_exp_f32_e32 v67, v45
	.loc	1 61 21                         ; attention_bwd.py:61:21 @[ attention_bwd.py:200:26 ]
	ds_write_b16 v127, v36 offset:16640
	ds_write_b16 v127, v37 offset:16768
	ds_write_b16 v127, v38 offset:18688
	ds_write_b16 v127, v39 offset:18816
	v_bitop3_b32 v36, s33, 32, v35 bitop3:0x36
	v_add_u32_e32 v128, 0, v36
	v_cvt_f16_f32_e32 v36, v74
	.loc	1 53 32                         ; attention_bwd.py:53:32 @[ attention_bwd.py:200:26 ]
	v_sub_f32_e32 v47, v49, v251
	.loc	1 53 26 is_stmt 0               ; attention_bwd.py:53:26 @[ attention_bwd.py:200:26 ]
	v_exp_f32_e32 v0, v46
	.loc	1 61 21 is_stmt 1               ; attention_bwd.py:61:21 @[ attention_bwd.py:200:26 ]
	v_cvt_f16_f32_e32 v37, v75
	.loc	1 53 26                         ; attention_bwd.py:53:26 @[ attention_bwd.py:200:26 ]
	v_exp_f32_e32 v1, v47
	.loc	1 61 21                         ; attention_bwd.py:61:21 @[ attention_bwd.py:200:26 ]
	v_cvt_f16_f32_e32 v38, v66
	v_bitop3_b32 v35, s33, 40, v35 bitop3:0x36
	v_cvt_f16_f32_e32 v39, v67
	v_add_u32_e32 v129, 0, v35
	v_cvt_f16_f32_e32 v35, v72
	ds_write_b16 v128, v36 offset:17408
	ds_write_b16 v128, v37 offset:17536
	;; [unrolled: 1-line block ×4, first 2 shown]
	v_cvt_f16_f32_e32 v36, v73
	v_cvt_f16_f32_e32 v37, v0
	;; [unrolled: 1-line block ×3, first 2 shown]
	s_movk_i32 s2, 0x108
	.loc	1 66 24                         ; attention_bwd.py:66:24 @[ attention_bwd.py:200:26 ]
	ds_read_b128 v[140:143], v212 offset:8192
	.loc	1 61 21                         ; attention_bwd.py:61:21 @[ attention_bwd.py:200:26 ]
	ds_write_b16 v129, v35 offset:17664
	ds_write_b16 v129, v36 offset:17792
	;; [unrolled: 1-line block ×4, first 2 shown]
	v_bitop3_b32 v36, v130, v102, s2 bitop3:0x6c
	v_and_b32_e32 v35, 0x80, v131
	s_lshr_b32 s1, s81, 2
	v_xor_b32_e32 v34, v36, v34
	v_or3_b32 v34, v35, v34, s1
	s_movk_i32 s1, 0x420
	v_or_b32_e32 v35, v34, v85
	v_bitop3_b32 v34, v34, s1, v85 bitop3:0x36
	.loc	1 66 24                         ; attention_bwd.py:66:24 @[ attention_bwd.py:200:26 ]
	s_and_b64 vcc, exec, s[18:19]
	v_add_u32_e32 v130, 0, v35
	v_add_u32_e32 v131, 0, v34
	.loc	1 61 21                         ; attention_bwd.py:61:21 @[ attention_bwd.py:200:26 ]
	s_waitcnt lgkmcnt(0)
	s_barrier
	.loc	1 66 24                         ; attention_bwd.py:66:24 @[ attention_bwd.py:200:26 ]
	s_cbranch_vccnz .LBB0_58
; %bb.57:
	scratch_load_dwordx4 v[84:87], off, off offset:72 ; 16-byte Folded Reload
	.loc	1 0 0 is_stmt 0                 ; attention_bwd.py:0 @[ attention_bwd.py:200:26 ]
	ds_read_b64_tr_b16 v[58:59], v130 offset:16384
	ds_read_b64_tr_b16 v[60:61], v131 offset:16384
	;; [unrolled: 1-line block ×4, first 2 shown]
	.loc	1 62 26 is_stmt 1               ; attention_bwd.py:62:26 @[ attention_bwd.py:200:26 ]
	v_mov_b64_e32 v[48:49], v[16:17]
	v_mov_b64_e32 v[46:47], v[14:15]
	;; [unrolled: 1-line block ×8, first 2 shown]
	s_waitcnt lgkmcnt(2)
	s_nop 0
	v_mfma_f32_32x32x16_f16 v[34:49], v[50:53], v[58:61], v[34:49]
	s_waitcnt lgkmcnt(0)
	v_mfma_f32_32x32x16_f16 v[34:49], v[54:57], v[62:65], v[34:49]
	.loc	1 66 24                         ; attention_bwd.py:66:24 @[ attention_bwd.py:200:26 ]
	s_waitcnt vmcnt(0)
	v_mfma_f32_32x32x16_f16 v[50:65], v[140:143], v[84:87], 0
	scratch_load_dwordx4 v[84:87], off, off offset:56 ; 16-byte Folded Reload
	s_waitcnt vmcnt(0)
	v_mfma_f32_32x32x16_f16 v[50:65], v[148:151], v[84:87], v[50:65]
	scratch_load_dwordx4 v[84:87], off, off offset:40 ; 16-byte Folded Reload
	;; [unrolled: 3-line block ×3, first 2 shown]
	s_waitcnt vmcnt(0)
	v_mfma_f32_32x32x16_f16 v[50:65], v[182:185], v[84:87], v[50:65]
	v_mfma_f32_32x32x16_f16 v[50:65], v[152:155], v[230:233], v[50:65]
	;; [unrolled: 1-line block ×5, first 2 shown]
	s_branch .LBB0_59
.LBB0_58:
	.loc	1 0 24 is_stmt 0                ; attention_bwd.py:0:24
	v_mov_b32_e32 v50, 0
	v_mov_b32_e32 v34, v2
	;; [unrolled: 1-line block ×32, first 2 shown]
.LBB0_59:
	.loc	1 67 26 is_stmt 1               ; attention_bwd.py:67:26 @[ attention_bwd.py:200:26 ]
	s_nop 10
	v_pk_add_f32 v[50:51], v[50:51], v[104:105] neg_lo:[0,1] neg_hi:[0,1]
	v_pk_add_f32 v[58:59], v[58:59], v[112:113] neg_lo:[0,1] neg_hi:[0,1]
	.loc	1 67 20 is_stmt 0               ; attention_bwd.py:67:20 @[ attention_bwd.py:200:26 ]
	v_pk_mul_f32 v[50:51], v[78:79], v[50:51]
	v_pk_mul_f32 v[58:59], v[70:71], v[58:59]
	.loc	1 68 21 is_stmt 1               ; attention_bwd.py:68:21 @[ attention_bwd.py:200:26 ]
	v_cvt_f16_f32_e32 v50, v50
	v_cvt_f16_f32_e32 v51, v51
	.loc	1 67 26                         ; attention_bwd.py:67:26 @[ attention_bwd.py:200:26 ]
	v_pk_add_f32 v[52:53], v[52:53], v[106:107] neg_lo:[0,1] neg_hi:[0,1]
	.loc	1 68 21                         ; attention_bwd.py:68:21 @[ attention_bwd.py:200:26 ]
	v_cvt_f16_f32_e32 v58, v58
	.loc	1 67 20                         ; attention_bwd.py:67:20 @[ attention_bwd.py:200:26 ]
	v_pk_mul_f32 v[52:53], v[76:77], v[52:53]
	.loc	1 68 21                         ; attention_bwd.py:68:21 @[ attention_bwd.py:200:26 ]
	v_cvt_f16_f32_e32 v59, v59
	.loc	1 67 26                         ; attention_bwd.py:67:26 @[ attention_bwd.py:200:26 ]
	v_pk_add_f32 v[60:61], v[60:61], v[114:115] neg_lo:[0,1] neg_hi:[0,1]
	.loc	1 68 21                         ; attention_bwd.py:68:21 @[ attention_bwd.py:200:26 ]
	s_waitcnt lgkmcnt(0)
	s_barrier
	ds_write_b16 v126, v50 offset:16384
	ds_write_b16 v126, v51 offset:16512
	;; [unrolled: 1-line block ×4, first 2 shown]
	v_cvt_f16_f32_e32 v50, v52
	.loc	1 67 20                         ; attention_bwd.py:67:20 @[ attention_bwd.py:200:26 ]
	v_pk_mul_f32 v[60:61], v[68:69], v[60:61]
	.loc	1 68 21                         ; attention_bwd.py:68:21 @[ attention_bwd.py:200:26 ]
	v_cvt_f16_f32_e32 v51, v53
	.loc	1 67 26                         ; attention_bwd.py:67:26 @[ attention_bwd.py:200:26 ]
	v_pk_add_f32 v[54:55], v[54:55], v[108:109] neg_lo:[0,1] neg_hi:[0,1]
	.loc	1 68 21                         ; attention_bwd.py:68:21 @[ attention_bwd.py:200:26 ]
	v_cvt_f16_f32_e32 v52, v60
	.loc	1 67 20                         ; attention_bwd.py:67:20 @[ attention_bwd.py:200:26 ]
	v_pk_mul_f32 v[54:55], v[74:75], v[54:55]
	.loc	1 68 21                         ; attention_bwd.py:68:21 @[ attention_bwd.py:200:26 ]
	v_cvt_f16_f32_e32 v53, v61
	.loc	1 67 26                         ; attention_bwd.py:67:26 @[ attention_bwd.py:200:26 ]
	v_pk_add_f32 v[62:63], v[62:63], v[116:117] neg_lo:[0,1] neg_hi:[0,1]
	.loc	1 68 21                         ; attention_bwd.py:68:21 @[ attention_bwd.py:200:26 ]
	ds_write_b16 v127, v50 offset:16640
	ds_write_b16 v127, v51 offset:16768
	;; [unrolled: 1-line block ×4, first 2 shown]
	v_cvt_f16_f32_e32 v50, v54
	.loc	1 67 20                         ; attention_bwd.py:67:20 @[ attention_bwd.py:200:26 ]
	v_pk_mul_f32 v[62:63], v[66:67], v[62:63]
	.loc	1 68 21                         ; attention_bwd.py:68:21 @[ attention_bwd.py:200:26 ]
	v_cvt_f16_f32_e32 v51, v55
	.loc	1 67 26                         ; attention_bwd.py:67:26 @[ attention_bwd.py:200:26 ]
	v_pk_add_f32 v[56:57], v[56:57], v[110:111] neg_lo:[0,1] neg_hi:[0,1]
	.loc	1 68 21                         ; attention_bwd.py:68:21 @[ attention_bwd.py:200:26 ]
	v_cvt_f16_f32_e32 v52, v62
	.loc	1 67 20                         ; attention_bwd.py:67:20 @[ attention_bwd.py:200:26 ]
	v_pk_mul_f32 v[56:57], v[72:73], v[56:57]
	.loc	1 68 21                         ; attention_bwd.py:68:21 @[ attention_bwd.py:200:26 ]
	v_cvt_f16_f32_e32 v53, v63
	.loc	1 67 26                         ; attention_bwd.py:67:26 @[ attention_bwd.py:200:26 ]
	v_pk_add_f32 v[64:65], v[64:65], v[118:119] neg_lo:[0,1] neg_hi:[0,1]
	.loc	1 68 21                         ; attention_bwd.py:68:21 @[ attention_bwd.py:200:26 ]
	ds_write_b16 v128, v50 offset:17408
	ds_write_b16 v128, v51 offset:17536
	;; [unrolled: 1-line block ×4, first 2 shown]
	v_cvt_f16_f32_e32 v50, v56
	.loc	1 67 20                         ; attention_bwd.py:67:20 @[ attention_bwd.py:200:26 ]
	v_pk_mul_f32 v[0:1], v[0:1], v[64:65]
	.loc	1 68 21                         ; attention_bwd.py:68:21 @[ attention_bwd.py:200:26 ]
	v_cvt_f16_f32_e32 v51, v57
	v_cvt_f16_f32_e32 v0, v0
	;; [unrolled: 1-line block ×3, first 2 shown]
	.loc	1 69 26                         ; attention_bwd.py:69:26 @[ attention_bwd.py:200:26 ]
	s_and_b64 vcc, exec, s[18:19]
	.loc	1 68 21                         ; attention_bwd.py:68:21 @[ attention_bwd.py:200:26 ]
	ds_write_b16 v129, v50 offset:17664
	ds_write_b16 v129, v51 offset:17792
	;; [unrolled: 1-line block ×4, first 2 shown]
	s_waitcnt lgkmcnt(0)
	s_barrier
	.loc	1 69 26                         ; attention_bwd.py:69:26 @[ attention_bwd.py:200:26 ]
	s_cbranch_vccnz .LBB0_61
; %bb.60:
	.loc	1 0 0 is_stmt 0                 ; attention_bwd.py:0 @[ attention_bwd.py:200:26 ]
	ds_read_b64_tr_b16 v[0:1], v130 offset:16384
	ds_read_b64_tr_b16 v[2:3], v131 offset:16384
	;; [unrolled: 1-line block ×4, first 2 shown]
	v_mov_b32_e32 v17, v49
	v_mov_b32_e32 v16, v48
	.loc	1 69 26                         ; attention_bwd.py:69:26 @[ attention_bwd.py:200:26 ]
	s_waitcnt lgkmcnt(2)
	v_mfma_f32_32x32x16_f16 v[18:33], v[136:139], v[0:3], v[18:33]
	v_mov_b32_e32 v15, v47
	v_mov_b32_e32 v14, v46
	;; [unrolled: 1-line block ×7, first 2 shown]
	s_waitcnt lgkmcnt(0)
	v_mfma_f32_32x32x16_f16 v[18:33], v[132:135], v[4:7], v[18:33]
	v_mov_b32_e32 v8, v40
	v_mov_b32_e32 v7, v39
	;; [unrolled: 1-line block ×7, first 2 shown]
.Ltmp26:
.LBB0_61:                               ; %._crit_edge275
	.loc	1 0 26                          ; attention_bwd.py:0:26
	v_readlane_b32 s2, v255, 0
	v_readlane_b32 s3, v255, 1
	.loc	1 153 10 is_stmt 1              ; attention_bwd.py:153:10
	s_add_u32 s2, s2, s34
	s_addc_u32 s3, s3, s35
	.loc	1 154 10                        ; attention_bwd.py:154:10
	s_add_u32 s10, s28, s34
	s_addc_u32 s11, s29, s35
	.loc	1 165 36                        ; attention_bwd.py:165:36
	s_lshr_b32 s1, s81, 3
	v_or_b32_e32 v0, s1, v173
	.loc	1 165 23 is_stmt 0              ; attention_bwd.py:165:23
	v_or_b32_e32 v0, s14, v0
	.loc	1 171 58 is_stmt 1              ; attention_bwd.py:171:58
	s_lshr_b32 s1, s99, 1
	.loc	1 171 38 is_stmt 0              ; attention_bwd.py:171:38
	v_mul_lo_u32 v48, v0, s22
	.loc	1 171 58                        ; attention_bwd.py:171:58
	v_or_b32_e32 v0, s1, v80
	v_or_b32_e32 v1, 1, v0
	;; [unrolled: 1-line block ×16, first 2 shown]
	.loc	1 171 69                        ; attention_bwd.py:171:69
	v_mul_lo_u32 v50, v0, s23
	.loc	1 204 19 is_stmt 1              ; attention_bwd.py:204:19
	v_ashrrev_i32_e32 v49, 31, v48
	.loc	1 171 69                        ; attention_bwd.py:171:69
	v_mul_lo_u32 v52, v1, s23
	v_mul_lo_u32 v54, v34, s23
	;; [unrolled: 1-line block ×15, first 2 shown]
	.loc	1 204 19                        ; attention_bwd.py:204:19
	v_lshlrev_b64 v[0:1], 1, v[48:49]
	.loc	1 204 50 is_stmt 0              ; attention_bwd.py:204:50
	v_ashrrev_i32_e32 v51, 31, v50
	.loc	1 204 19                        ; attention_bwd.py:204:19
	v_lshl_add_u64 v[34:35], s[10:11], 0, v[0:1]
	.loc	1 204 50                        ; attention_bwd.py:204:50
	v_lshlrev_b64 v[36:37], 1, v[50:51]
	v_ashrrev_i32_e32 v53, 31, v52
	v_ashrrev_i32_e32 v55, 31, v54
	;; [unrolled: 1-line block ×15, first 2 shown]
	.loc	1 205 22 is_stmt 1              ; attention_bwd.py:205:22
	v_cvt_pk_f16_f32 v2, v2, v3
	v_cvt_pk_f16_f32 v3, v4, v5
	;; [unrolled: 1-line block ×8, first 2 shown]
	.loc	1 209 19                        ; attention_bwd.py:209:19
	v_lshl_add_u64 v[0:1], s[2:3], 0, v[0:1]
	.loc	1 220 20                        ; attention_bwd.py:220:20
	s_add_u32 s2, s48, s40
	.loc	1 204 50                        ; attention_bwd.py:204:50
	v_lshl_add_u64 v[38:39], v[34:35], 0, v[36:37]
	v_lshlrev_b64 v[40:41], 1, v[52:53]
	v_lshlrev_b64 v[44:45], 1, v[54:55]
	;; [unrolled: 1-line block ×15, first 2 shown]
	.loc	1 205 22                        ; attention_bwd.py:205:22
	v_permlane32_swap_b32_e32 v2, v4
	v_permlane32_swap_b32_e32 v3, v5
	v_permlane32_swap_b32_e32 v6, v8
	v_permlane32_swap_b32_e32 v7, v9
	.loc	1 220 20                        ; attention_bwd.py:220:20
	s_addc_u32 s3, s49, s41
	.loc	1 204 50                        ; attention_bwd.py:204:50
	v_lshl_add_u64 v[42:43], v[34:35], 0, v[40:41]
	v_lshl_add_u64 v[46:47], v[34:35], 0, v[44:45]
	;; [unrolled: 1-line block ×15, first 2 shown]
	.loc	1 205 22                        ; attention_bwd.py:205:22
	global_store_short v[38:39], v2, off
	global_store_short_d16_hi v[42:43], v2, off
	global_store_short v[46:47], v3, off
	global_store_short_d16_hi v[86:87], v3, off
	;; [unrolled: 2-line block ×8, first 2 shown]
	.loc	1 208 10                        ; attention_bwd.py:208:10
	v_pk_mul_f32 v[2:3], s[8:9], v[18:19] op_sel_hi:[0,1]
	v_pk_mul_f32 v[4:5], s[8:9], v[20:21] op_sel_hi:[0,1]
	;; [unrolled: 1-line block ×8, first 2 shown]
	.loc	1 220 20                        ; attention_bwd.py:220:20
	s_add_u32 s8, s48, s42
	s_addc_u32 s9, s49, s43
	s_add_u32 s10, s48, s44
	s_addc_u32 s11, s49, s45
	;; [unrolled: 2-line block ×13, first 2 shown]
	s_add_u32 s92, s48, s70
	.loc	1 210 22                        ; attention_bwd.py:210:22
	v_cvt_pk_f16_f32 v2, v2, v3
	v_cvt_pk_f16_f32 v3, v4, v5
	;; [unrolled: 1-line block ×8, first 2 shown]
	.loc	1 220 20                        ; attention_bwd.py:220:20
	s_addc_u32 s93, s49, s71
	.loc	1 209 50                        ; attention_bwd.py:209:50
	v_lshl_add_u64 v[18:19], v[0:1], 0, v[36:37]
	v_lshl_add_u64 v[20:21], v[0:1], 0, v[40:41]
	;; [unrolled: 1-line block ×16, first 2 shown]
	.loc	1 210 22                        ; attention_bwd.py:210:22
	v_permlane32_swap_b32_e32 v2, v4
	v_permlane32_swap_b32_e32 v3, v5
	;; [unrolled: 1-line block ×4, first 2 shown]
	.loc	1 220 20                        ; attention_bwd.py:220:20
	s_add_u32 s48, s48, s72
	.loc	1 210 22                        ; attention_bwd.py:210:22
	global_store_short v[18:19], v2, off
	global_store_short_d16_hi v[20:21], v2, off
	global_store_short v[22:23], v3, off
	global_store_short_d16_hi v[24:25], v3, off
	;; [unrolled: 2-line block ×8, first 2 shown]
	.loc	1 220 20                        ; attention_bwd.py:220:20
	s_addc_u32 s49, s49, s73
	.loc	1 220 51 is_stmt 0              ; attention_bwd.py:220:51
	v_lshl_add_u64 v[0:1], s[2:3], 0, v[82:83]
	v_lshl_add_u64 v[2:3], s[8:9], 0, v[82:83]
	;; [unrolled: 1-line block ×16, first 2 shown]
	.loc	1 220 16                        ; attention_bwd.py:220:16
	global_load_ushort v0, v[0:1], off
	s_nop 0
	global_load_ushort v1, v[8:9], off
	s_nop 0
	global_load_ushort v8, v[16:17], off
	global_load_ushort v9, v[24:25], off
	s_nop 0
	global_load_ushort v2, v[2:3], off
	s_nop 0
	global_load_ushort v3, v[10:11], off
	s_nop 0
	global_load_ushort v10, v[18:19], off
	global_load_ushort v11, v[26:27], off
	s_nop 0
	;; [unrolled: 7-line block ×3, first 2 shown]
	global_load_ushort v6, v[6:7], off
	s_nop 0
	global_load_ushort v7, v[14:15], off
	s_nop 0
	global_load_ushort v14, v[22:23], off
	global_load_ushort v15, v[30:31], off
	.loc	1 222 22 is_stmt 1              ; attention_bwd.py:222:22
	s_add_u32 s2, s80, s40
	s_addc_u32 s3, s98, s41
	s_add_u32 s8, s80, s42
	s_addc_u32 s9, s98, s43
	;; [unrolled: 2-line block ×15, first 2 shown]
	s_add_u32 s54, s80, s72
	.loc	1 220 16                        ; attention_bwd.py:220:16
	s_waitcnt vmcnt(15)
	ds_write_b16 v156, v0
	s_waitcnt vmcnt(14)
	ds_write_b16 v156, v1 offset:4096
	s_waitcnt vmcnt(13)
	ds_write_b16 v156, v8 offset:8192
	;; [unrolled: 2-line block ×15, first 2 shown]
	.loc	1 222 22                        ; attention_bwd.py:222:22
	s_addc_u32 s55, s98, s73
	.loc	1 222 53 is_stmt 0              ; attention_bwd.py:222:53
	v_lshl_add_u64 v[0:1], s[2:3], 0, v[82:83]
	.loc	1 220 16 is_stmt 1              ; attention_bwd.py:220:16
	s_waitcnt lgkmcnt(0)
	s_barrier
	.loc	1 222 53                        ; attention_bwd.py:222:53
	v_lshl_add_u64 v[2:3], s[8:9], 0, v[82:83]
	v_lshl_add_u64 v[4:5], s[10:11], 0, v[82:83]
	v_lshl_add_u64 v[6:7], s[16:17], 0, v[82:83]
	v_lshl_add_u64 v[8:9], s[24:25], 0, v[82:83]
	v_lshl_add_u64 v[10:11], s[26:27], 0, v[82:83]
	v_lshl_add_u64 v[12:13], s[28:29], 0, v[82:83]
	v_lshl_add_u64 v[14:15], s[30:31], 0, v[82:83]
	v_lshl_add_u64 v[16:17], s[40:41], 0, v[82:83]
	v_lshl_add_u64 v[18:19], s[42:43], 0, v[82:83]
	v_lshl_add_u64 v[20:21], s[44:45], 0, v[82:83]
	v_lshl_add_u64 v[22:23], s[46:47], 0, v[82:83]
	v_lshl_add_u64 v[24:25], s[48:49], 0, v[82:83]
	v_lshl_add_u64 v[26:27], s[50:51], 0, v[82:83]
	v_lshl_add_u64 v[28:29], s[52:53], 0, v[82:83]
	v_lshl_add_u64 v[30:31], s[54:55], 0, v[82:83]
	.loc	1 222 17 is_stmt 0              ; attention_bwd.py:222:17
	global_load_ushort v0, v[0:1], off
	s_nop 0
	global_load_ushort v1, v[8:9], off
	global_load_ushort v32, v[16:17], off
	;; [unrolled: 1-line block ×15, first 2 shown]
	.loc	1 220 16 is_stmt 1              ; attention_bwd.py:220:16
	ds_read_b128 v[168:171], v174
	ds_read_b128 v[158:161], v175
	;; [unrolled: 1-line block ×8, first 2 shown]
	.loc	1 222 17                        ; attention_bwd.py:222:17
	s_waitcnt lgkmcnt(0)
	s_barrier
	s_waitcnt vmcnt(15)
	ds_write_b16 v156, v0
	s_waitcnt vmcnt(14)
	ds_write_b16 v156, v1 offset:4096
	s_waitcnt vmcnt(13)
	ds_write_b16 v156, v32 offset:8192
	;; [unrolled: 2-line block ×15, first 2 shown]
.Ltmp27:
	.loc	1 102 21                        ; attention_bwd.py:102:21 @[ attention_bwd.py:253:40 ]
	s_and_b64 vcc, exec, s[18:19]
	.loc	1 93 18                         ; attention_bwd.py:93:18 @[ attention_bwd.py:253:40 ]
	v_lshl_add_u64 v[0:1], v[204:205], 1, s[38:39]
.Ltmp28:
	.loc	1 222 17                        ; attention_bwd.py:222:17
	s_waitcnt lgkmcnt(0)
	s_barrier
.Ltmp29:
	.loc	1 102 21                        ; attention_bwd.py:102:21 @[ attention_bwd.py:253:40 ]
	s_cbranch_vccnz .LBB0_78
; %bb.62:
	.loc	1 93 49                         ; attention_bwd.py:93:49 @[ attention_bwd.py:253:40 ]
	v_lshl_add_u64 v[2:3], v[206:207], 1, v[0:1]
	.loc	1 102 21                        ; attention_bwd.py:102:21 @[ attention_bwd.py:253:40 ]
	global_load_ushort v6, v[2:3], off
	s_and_b64 vcc, exec, s[18:19]
	s_cbranch_vccz .LBB0_79
.LBB0_63:
	.loc	1 0 21 is_stmt 0                ; attention_bwd.py:0:21
	v_mov_b32_e32 v7, 0
	.loc	1 102 21                        ; attention_bwd.py:102:21 @[ attention_bwd.py:253:40 ]
	s_and_b64 vcc, exec, s[18:19]
	s_cbranch_vccz .LBB0_80
.LBB0_64:
	.loc	1 0 21                          ; attention_bwd.py:0:21
	v_mov_b32_e32 v8, 0
	.loc	1 102 21                        ; attention_bwd.py:102:21 @[ attention_bwd.py:253:40 ]
	s_and_b64 vcc, exec, s[18:19]
	s_cbranch_vccz .LBB0_81
.LBB0_65:
	.loc	1 0 21                          ; attention_bwd.py:0:21
	v_mov_b32_e32 v9, 0
	.loc	1 102 21                        ; attention_bwd.py:102:21 @[ attention_bwd.py:253:40 ]
	s_and_b64 vcc, exec, s[18:19]
	s_cbranch_vccz .LBB0_82
.LBB0_66:
	.loc	1 0 21                          ; attention_bwd.py:0:21
	v_mov_b32_e32 v10, 0
	.loc	1 102 21                        ; attention_bwd.py:102:21 @[ attention_bwd.py:253:40 ]
	s_and_b64 vcc, exec, s[18:19]
	s_cbranch_vccz .LBB0_83
.LBB0_67:
	.loc	1 0 21                          ; attention_bwd.py:0:21
	v_mov_b32_e32 v11, 0
	.loc	1 102 21                        ; attention_bwd.py:102:21 @[ attention_bwd.py:253:40 ]
	s_and_b64 vcc, exec, s[18:19]
	s_cbranch_vccz .LBB0_84
.LBB0_68:
	.loc	1 0 21                          ; attention_bwd.py:0:21
	v_mov_b32_e32 v12, 0
	.loc	1 102 21                        ; attention_bwd.py:102:21 @[ attention_bwd.py:253:40 ]
	s_and_b64 vcc, exec, s[18:19]
	s_cbranch_vccz .LBB0_85
.LBB0_69:
	.loc	1 0 21                          ; attention_bwd.py:0:21
	v_mov_b32_e32 v13, 0
	.loc	1 103 21 is_stmt 1              ; attention_bwd.py:103:21 @[ attention_bwd.py:253:40 ]
	s_and_b64 vcc, exec, s[18:19]
	.loc	1 94 18                         ; attention_bwd.py:94:18 @[ attention_bwd.py:253:40 ]
	v_lshl_add_u64 v[0:1], v[204:205], 1, s[36:37]
	.loc	1 103 21                        ; attention_bwd.py:103:21 @[ attention_bwd.py:253:40 ]
	s_cbranch_vccz .LBB0_86
.LBB0_70:
	.loc	1 0 21 is_stmt 0                ; attention_bwd.py:0:21
	v_mov_b32_e32 v14, 0
	.loc	1 103 21                        ; attention_bwd.py:103:21 @[ attention_bwd.py:253:40 ]
	s_and_b64 vcc, exec, s[18:19]
	s_cbranch_vccz .LBB0_87
.LBB0_71:
	.loc	1 0 21                          ; attention_bwd.py:0:21
	v_mov_b32_e32 v15, 0
	.loc	1 103 21                        ; attention_bwd.py:103:21 @[ attention_bwd.py:253:40 ]
	s_and_b64 vcc, exec, s[18:19]
	s_lshr_b32 s1, s33, 1
	s_cbranch_vccz .LBB0_88
.LBB0_72:
	.loc	1 0 21                          ; attention_bwd.py:0:21
	v_mov_b32_e32 v16, 0
	.loc	1 103 21                        ; attention_bwd.py:103:21 @[ attention_bwd.py:253:40 ]
	s_and_b64 vcc, exec, s[18:19]
	v_or_b32_e32 v2, s1, v173
	s_cbranch_vccz .LBB0_89
.LBB0_73:
	.loc	1 0 21                          ; attention_bwd.py:0:21
	v_mov_b32_e32 v17, 0
	.loc	1 103 21                        ; attention_bwd.py:103:21 @[ attention_bwd.py:253:40 ]
	s_and_b64 vcc, exec, s[18:19]
	v_or_b32_e32 v2, s14, v2
	s_cbranch_vccz .LBB0_90
.LBB0_74:
	.loc	1 0 21                          ; attention_bwd.py:0:21
	v_mov_b32_e32 v18, 0
	.loc	1 103 21                        ; attention_bwd.py:103:21 @[ attention_bwd.py:253:40 ]
	s_and_b64 vcc, exec, s[18:19]
	v_ashrrev_i32_e32 v3, 31, v2
	s_cbranch_vccz .LBB0_91
.LBB0_75:
	.loc	1 0 21                          ; attention_bwd.py:0:21
	v_mov_b32_e32 v19, 0
	.loc	1 103 21                        ; attention_bwd.py:103:21 @[ attention_bwd.py:253:40 ]
	s_and_b64 vcc, exec, s[18:19]
	s_cbranch_vccz .LBB0_92
.LBB0_76:
	.loc	1 0 21                          ; attention_bwd.py:0:21
	v_mov_b32_e32 v20, 0
	.loc	1 103 21                        ; attention_bwd.py:103:21 @[ attention_bwd.py:253:40 ]
	s_and_b64 vcc, exec, s[18:19]
	v_lshl_add_u64 v[4:5], v[2:3], 2, s[76:77]
	s_cbranch_vccz .LBB0_93
.LBB0_77:
	.loc	1 0 21                          ; attention_bwd.py:0:21
	v_mov_b32_e32 v0, 0
	.loc	1 103 21                        ; attention_bwd.py:103:21 @[ attention_bwd.py:253:40 ]
	s_branch .LBB0_94
.LBB0_78:
	.loc	1 0 21                          ; attention_bwd.py:0:21
	v_mov_b32_e32 v6, 0
	.loc	1 102 21 is_stmt 1              ; attention_bwd.py:102:21 @[ attention_bwd.py:253:40 ]
	s_and_b64 vcc, exec, s[18:19]
	s_cbranch_vccnz .LBB0_63
.LBB0_79:
	.loc	1 93 49                         ; attention_bwd.py:93:49 @[ attention_bwd.py:253:40 ]
	v_lshl_add_u64 v[2:3], v[208:209], 1, v[0:1]
	.loc	1 102 21                        ; attention_bwd.py:102:21 @[ attention_bwd.py:253:40 ]
	global_load_ushort v7, v[2:3], off
	s_and_b64 vcc, exec, s[18:19]
	s_cbranch_vccnz .LBB0_64
.LBB0_80:
	.loc	1 93 49                         ; attention_bwd.py:93:49 @[ attention_bwd.py:253:40 ]
	v_lshl_add_u64 v[2:3], v[210:211], 1, v[0:1]
	.loc	1 102 21                        ; attention_bwd.py:102:21 @[ attention_bwd.py:253:40 ]
	global_load_ushort v8, v[2:3], off
	s_and_b64 vcc, exec, s[18:19]
	s_cbranch_vccnz .LBB0_65
.LBB0_81:
	.loc	1 93 49                         ; attention_bwd.py:93:49 @[ attention_bwd.py:253:40 ]
	v_lshl_add_u64 v[2:3], v[178:179], 1, v[0:1]
	.loc	1 102 21                        ; attention_bwd.py:102:21 @[ attention_bwd.py:253:40 ]
	global_load_ushort v9, v[2:3], off
	s_and_b64 vcc, exec, s[18:19]
	s_cbranch_vccnz .LBB0_66
.LBB0_82:
	.loc	1 93 49                         ; attention_bwd.py:93:49 @[ attention_bwd.py:253:40 ]
	v_lshl_add_u64 v[2:3], v[214:215], 1, v[0:1]
	.loc	1 102 21                        ; attention_bwd.py:102:21 @[ attention_bwd.py:253:40 ]
	global_load_ushort v10, v[2:3], off
	s_and_b64 vcc, exec, s[18:19]
	s_cbranch_vccnz .LBB0_67
.LBB0_83:
	.loc	1 93 49                         ; attention_bwd.py:93:49 @[ attention_bwd.py:253:40 ]
	v_lshl_add_u64 v[2:3], v[216:217], 1, v[0:1]
	.loc	1 102 21                        ; attention_bwd.py:102:21 @[ attention_bwd.py:253:40 ]
	global_load_ushort v11, v[2:3], off
	s_and_b64 vcc, exec, s[18:19]
	s_cbranch_vccnz .LBB0_68
.LBB0_84:
	.loc	1 93 49                         ; attention_bwd.py:93:49 @[ attention_bwd.py:253:40 ]
	v_lshl_add_u64 v[2:3], v[218:219], 1, v[0:1]
	.loc	1 102 21                        ; attention_bwd.py:102:21 @[ attention_bwd.py:253:40 ]
	global_load_ushort v12, v[2:3], off
	s_and_b64 vcc, exec, s[18:19]
	s_cbranch_vccnz .LBB0_69
.LBB0_85:
	.loc	1 93 49                         ; attention_bwd.py:93:49 @[ attention_bwd.py:253:40 ]
	v_lshl_add_u64 v[0:1], v[220:221], 1, v[0:1]
	.loc	1 102 21                        ; attention_bwd.py:102:21 @[ attention_bwd.py:253:40 ]
	global_load_ushort v13, v[0:1], off
	.loc	1 103 21                        ; attention_bwd.py:103:21 @[ attention_bwd.py:253:40 ]
	s_and_b64 vcc, exec, s[18:19]
	.loc	1 94 18                         ; attention_bwd.py:94:18 @[ attention_bwd.py:253:40 ]
	v_lshl_add_u64 v[0:1], v[204:205], 1, s[36:37]
	.loc	1 103 21                        ; attention_bwd.py:103:21 @[ attention_bwd.py:253:40 ]
	s_cbranch_vccnz .LBB0_70
.LBB0_86:
	.loc	1 94 49                         ; attention_bwd.py:94:49 @[ attention_bwd.py:253:40 ]
	v_lshl_add_u64 v[2:3], v[206:207], 1, v[0:1]
	.loc	1 103 21                        ; attention_bwd.py:103:21 @[ attention_bwd.py:253:40 ]
	global_load_ushort v14, v[2:3], off
	s_and_b64 vcc, exec, s[18:19]
	s_cbranch_vccnz .LBB0_71
.LBB0_87:
	.loc	1 94 49                         ; attention_bwd.py:94:49 @[ attention_bwd.py:253:40 ]
	v_lshl_add_u64 v[2:3], v[208:209], 1, v[0:1]
	.loc	1 103 21                        ; attention_bwd.py:103:21 @[ attention_bwd.py:253:40 ]
	global_load_ushort v15, v[2:3], off
	s_and_b64 vcc, exec, s[18:19]
	s_lshr_b32 s1, s33, 1
	s_cbranch_vccnz .LBB0_72
.LBB0_88:
	.loc	1 94 49                         ; attention_bwd.py:94:49 @[ attention_bwd.py:253:40 ]
	v_lshl_add_u64 v[2:3], v[210:211], 1, v[0:1]
	.loc	1 103 21                        ; attention_bwd.py:103:21 @[ attention_bwd.py:253:40 ]
	global_load_ushort v16, v[2:3], off
	s_and_b64 vcc, exec, s[18:19]
	v_or_b32_e32 v2, s1, v173
	s_cbranch_vccnz .LBB0_73
.LBB0_89:
	.loc	1 94 49                         ; attention_bwd.py:94:49 @[ attention_bwd.py:253:40 ]
	v_lshl_add_u64 v[4:5], v[178:179], 1, v[0:1]
	.loc	1 103 21                        ; attention_bwd.py:103:21 @[ attention_bwd.py:253:40 ]
	global_load_ushort v17, v[4:5], off
	s_and_b64 vcc, exec, s[18:19]
	v_or_b32_e32 v2, s14, v2
	s_cbranch_vccnz .LBB0_74
.LBB0_90:
	.loc	1 94 49                         ; attention_bwd.py:94:49 @[ attention_bwd.py:253:40 ]
	v_lshl_add_u64 v[4:5], v[214:215], 1, v[0:1]
	.loc	1 103 21                        ; attention_bwd.py:103:21 @[ attention_bwd.py:253:40 ]
	global_load_ushort v18, v[4:5], off
	s_and_b64 vcc, exec, s[18:19]
	v_ashrrev_i32_e32 v3, 31, v2
	s_cbranch_vccnz .LBB0_75
.LBB0_91:
	.loc	1 94 49                         ; attention_bwd.py:94:49 @[ attention_bwd.py:253:40 ]
	v_lshl_add_u64 v[4:5], v[216:217], 1, v[0:1]
	.loc	1 103 21                        ; attention_bwd.py:103:21 @[ attention_bwd.py:253:40 ]
	global_load_ushort v19, v[4:5], off
	s_and_b64 vcc, exec, s[18:19]
	s_cbranch_vccnz .LBB0_76
.LBB0_92:
	.loc	1 94 49                         ; attention_bwd.py:94:49 @[ attention_bwd.py:253:40 ]
	v_lshl_add_u64 v[4:5], v[218:219], 1, v[0:1]
	.loc	1 103 21                        ; attention_bwd.py:103:21 @[ attention_bwd.py:253:40 ]
	global_load_ushort v20, v[4:5], off
	s_and_b64 vcc, exec, s[18:19]
	v_lshl_add_u64 v[4:5], v[2:3], 2, s[76:77]
	s_cbranch_vccnz .LBB0_77
.LBB0_93:
	.loc	1 94 49                         ; attention_bwd.py:94:49 @[ attention_bwd.py:253:40 ]
	v_lshl_add_u64 v[0:1], v[220:221], 1, v[0:1]
	.loc	1 103 21                        ; attention_bwd.py:103:21 @[ attention_bwd.py:253:40 ]
	global_load_ushort v0, v[0:1], off
.LBB0_94:
	.loc	1 96 21                         ; attention_bwd.py:96:21 @[ attention_bwd.py:253:40 ]
	v_lshl_add_u64 v[2:3], v[2:3], 2, s[74:75]
	global_load_dword v116, v[4:5], off
	.loc	1 96 17 is_stmt 0               ; attention_bwd.py:96:17 @[ attention_bwd.py:253:40 ]
	global_load_dword v82, v[2:3], off
	ds_read_b128 v[196:199], v174
	ds_read_b128 v[192:195], v175
	;; [unrolled: 1-line block ×8, first 2 shown]
	.loc	1 101 25 is_stmt 1              ; attention_bwd.py:101:25 @[ attention_bwd.py:253:40 ]
	s_andn2_b64 vcc, exec, s[20:21]
	.loc	1 102 21                        ; attention_bwd.py:102:21 @[ attention_bwd.py:253:40 ]
	s_waitcnt lgkmcnt(0)
	s_barrier
	s_waitcnt vmcnt(2)
	ds_write_b16 v156, v6
	ds_write_b16 v156, v7 offset:1024
	ds_write_b16 v156, v8 offset:2048
	ds_write_b16 v156, v9 offset:3072
	ds_write_b16 v156, v10 offset:4096
	ds_write_b16 v156, v11 offset:5120
	ds_write_b16 v156, v12 offset:6144
	ds_write_b16 v156, v13 offset:7168
	.loc	1 103 21                        ; attention_bwd.py:103:21 @[ attention_bwd.py:253:40 ]
	ds_write_b16 v156, v14 offset:8192
	ds_write_b16 v156, v15 offset:9216
	;; [unrolled: 1-line block ×8, first 2 shown]
	.loc	1 101 25                        ; attention_bwd.py:101:25 @[ attention_bwd.py:253:40 ]
	s_cbranch_vccnz .LBB0_97
; %bb.95:                               ; %.lr.ph233
	v_add_u32_e32 v0, 0x70, v224
	v_mul_lo_u32 v0, s23, v0
	v_or_b32_e32 v2, 0x60, v224
	v_add_u32_e32 v4, 0x50, v224
	v_or_b32_e32 v6, 64, v224
	v_add_u32_e32 v8, 48, v224
	;; [unrolled: 2-line block ×3, first 2 shown]
	s_ashr_i32 s1, s0, 31
	v_ashrrev_i32_e32 v1, 31, v0
	v_mul_lo_u32 v2, s23, v2
	v_mul_lo_u32 v4, s23, v4
	;; [unrolled: 1-line block ×7, first 2 shown]
	v_lshl_add_u64 v[0:1], v[0:1], 1, v[222:223]
	s_lshl_b64 s[0:1], s[0:1], 1
	v_ashrrev_i32_e32 v3, 31, v2
	v_ashrrev_i32_e32 v5, 31, v4
	;; [unrolled: 1-line block ×7, first 2 shown]
	v_lshl_add_u64 v[0:1], v[0:1], 0, s[0:1]
	v_lshl_add_u64 v[2:3], v[2:3], 1, v[222:223]
	;; [unrolled: 1-line block ×17, first 2 shown]
	v_mov_b32_e32 v0, 0
	s_max_i32 s2, s12, 1
	.loc	1 113 23                        ; attention_bwd.py:113:23 @[ attention_bwd.py:253:40 ]
	s_waitcnt vmcnt(0)
	v_mov_b32_e32 v83, v82
	.loc	1 101 25                        ; attention_bwd.py:101:25 @[ attention_bwd.py:253:40 ]
	v_lshl_add_u64 v[86:87], s[6:7], 0, v[2:3]
	v_lshl_add_u64 v[88:89], s[6:7], 0, v[4:5]
	v_lshl_add_u64 v[90:91], s[6:7], 0, v[6:7]
	v_lshl_add_u64 v[92:93], s[6:7], 0, v[8:9]
	v_lshl_add_u64 v[94:95], s[6:7], 0, v[10:11]
	v_lshl_add_u64 v[96:97], s[6:7], 0, v[12:13]
	v_lshl_add_u64 v[98:99], s[6:7], 0, v[14:15]
	v_lshl_add_u64 v[102:103], s[4:5], 0, v[2:3]
	v_lshl_add_u64 v[104:105], s[4:5], 0, v[4:5]
	v_lshl_add_u64 v[106:107], s[4:5], 0, v[6:7]
	v_lshl_add_u64 v[108:109], s[4:5], 0, v[8:9]
	v_lshl_add_u64 v[110:111], s[4:5], 0, v[10:11]
	v_lshl_add_u64 v[112:113], s[4:5], 0, v[12:13]
	v_lshl_add_u64 v[114:115], s[4:5], 0, v[14:15]
	v_mov_b32_e32 v1, v0
	v_mov_b32_e32 v2, v0
	;; [unrolled: 1-line block ×15, first 2 shown]
.LBB0_96:                               ; =>This Inner Loop Header: Depth=1
	.loc	1 120 19                        ; attention_bwd.py:120:19 @[ attention_bwd.py:253:40 ]
	v_lshl_add_u64 v[16:17], v[114:115], 0, s[34:35]
	v_lshl_add_u64 v[18:19], v[112:113], 0, s[34:35]
	;; [unrolled: 1-line block ×7, first 2 shown]
	.loc	1 121 19                        ; attention_bwd.py:121:19 @[ attention_bwd.py:253:40 ]
	v_lshl_add_u64 v[30:31], v[100:101], 0, s[34:35]
	.loc	1 102 21                        ; attention_bwd.py:102:21 @[ attention_bwd.py:253:40 ]
	global_load_ushort v212, v[16:17], off
	global_load_ushort v213, v[18:19], off
	;; [unrolled: 1-line block ×8, first 2 shown]
	.loc	1 117 25                        ; attention_bwd.py:117:25 @[ attention_bwd.py:253:40 ]
	s_waitcnt lgkmcnt(0)
	s_barrier
	.loc	1 102 21                        ; attention_bwd.py:102:21 @[ attention_bwd.py:253:40 ]
	ds_read_b64_tr_b16 v[32:33], v125
	ds_read_b64_tr_b16 v[34:35], v124
	.loc	1 103 21                        ; attention_bwd.py:103:21 @[ attention_bwd.py:253:40 ]
	ds_read_b64_tr_b16 v[202:203], v125 offset:8192
	ds_read_b64_tr_b16 v[204:205], v124 offset:8192
	.loc	1 102 21                        ; attention_bwd.py:102:21 @[ attention_bwd.py:253:40 ]
	ds_read_b64_tr_b16 v[214:215], v125 offset:1024
	ds_read_b64_tr_b16 v[216:217], v124 offset:1024
	.loc	1 104 23                        ; attention_bwd.py:104:23 @[ attention_bwd.py:253:40 ]
	s_waitcnt lgkmcnt(4)
	v_mfma_f32_32x32x16_f16 v[16:31], v[32:35], v[168:171], 0
	.loc	1 103 21                        ; attention_bwd.py:103:21 @[ attention_bwd.py:253:40 ]
	ds_read_b64_tr_b16 v[226:227], v125 offset:9216
	ds_read_b64_tr_b16 v[228:229], v124 offset:9216
	.loc	1 102 21                        ; attention_bwd.py:102:21 @[ attention_bwd.py:253:40 ]
	ds_read_b64_tr_b16 v[232:233], v124 offset:2048
	ds_read_b64_tr_b16 v[230:231], v125 offset:2048
	;; [unrolled: 3-line block ×3, first 2 shown]
	.loc	1 121 19                        ; attention_bwd.py:121:19 @[ attention_bwd.py:253:40 ]
	v_lshl_add_u64 v[200:201], v[98:99], 0, s[34:35]
	v_lshl_add_u64 v[206:207], v[92:93], 0, s[34:35]
	;; [unrolled: 1-line block ×5, first 2 shown]
	.loc	1 102 21                        ; attention_bwd.py:102:21 @[ attention_bwd.py:253:40 ]
	v_lshl_add_u64 v[224:225], v[84:85], 0, s[34:35]
	.loc	1 112 24                        ; attention_bwd.py:112:24 @[ attention_bwd.py:253:40 ]
	s_waitcnt lgkmcnt(8)
	v_mfma_f32_32x32x16_f16 v[32:47], v[202:205], v[196:199], 0
	.loc	1 121 19                        ; attention_bwd.py:121:19 @[ attention_bwd.py:253:40 ]
	v_lshl_add_u64 v[202:203], v[96:97], 0, s[34:35]
	v_lshl_add_u64 v[204:205], v[94:95], 0, s[34:35]
	.loc	1 103 21                        ; attention_bwd.py:103:21 @[ attention_bwd.py:253:40 ]
	global_load_ushort v221, v[224:225], off
	.loc	1 101 25                        ; attention_bwd.py:101:25 @[ attention_bwd.py:253:40 ]
	s_add_i32 s2, s2, -1
	s_cmp_lg_u32 s2, 0
	v_lshl_add_u64 v[84:85], v[84:85], 0, s[0:1]
	v_lshl_add_u64 v[86:87], v[86:87], 0, s[0:1]
	.loc	1 104 23                        ; attention_bwd.py:104:23 @[ attention_bwd.py:253:40 ]
	s_waitcnt lgkmcnt(6)
	v_mfma_f32_32x32x16_f16 v[16:31], v[214:217], v[158:161], v[16:31]
	.loc	1 103 21                        ; attention_bwd.py:103:21 @[ attention_bwd.py:253:40 ]
	global_load_ushort v220, v[200:201], off
	global_load_ushort v214, v[202:203], off
	;; [unrolled: 1-line block ×7, first 2 shown]
	.loc	1 101 25                        ; attention_bwd.py:101:25 @[ attention_bwd.py:253:40 ]
	v_lshl_add_u64 v[88:89], v[88:89], 0, s[0:1]
	v_lshl_add_u64 v[90:91], v[90:91], 0, s[0:1]
	;; [unrolled: 1-line block ×6, first 2 shown]
	.loc	1 112 24                        ; attention_bwd.py:112:24 @[ attention_bwd.py:253:40 ]
	s_waitcnt lgkmcnt(4)
	v_mfma_f32_32x32x16_f16 v[32:47], v[226:229], v[192:195], v[32:47]
	.loc	1 102 21                        ; attention_bwd.py:102:21 @[ attention_bwd.py:253:40 ]
	ds_read_b64_tr_b16 v[202:203], v124 offset:3072
	ds_read_b64_tr_b16 v[200:201], v125 offset:3072
	.loc	1 103 21                        ; attention_bwd.py:103:21 @[ attention_bwd.py:253:40 ]
	ds_read_b64_tr_b16 v[224:225], v124 offset:11264
	ds_read_b64_tr_b16 v[222:223], v125 offset:11264
	;; [unrolled: 3-line block ×3, first 2 shown]
	.loc	1 101 25                        ; attention_bwd.py:101:25 @[ attention_bwd.py:253:40 ]
	v_lshl_add_u64 v[100:101], v[100:101], 0, s[0:1]
	v_lshl_add_u64 v[102:103], v[102:103], 0, s[0:1]
	;; [unrolled: 1-line block ×6, first 2 shown]
	.loc	1 104 23                        ; attention_bwd.py:104:23 @[ attention_bwd.py:253:40 ]
	s_waitcnt lgkmcnt(8)
	v_mfma_f32_32x32x16_f16 v[16:31], v[230:233], v[152:155], v[16:31]
	.loc	1 103 21                        ; attention_bwd.py:103:21 @[ attention_bwd.py:253:40 ]
	ds_read_b64_tr_b16 v[230:231], v125 offset:12288
	ds_read_b64_tr_b16 v[232:233], v124 offset:12288
	.loc	1 102 21                        ; attention_bwd.py:102:21 @[ attention_bwd.py:253:40 ]
	ds_read_b64_tr_b16 v[238:239], v125 offset:5120
	ds_read_b64_tr_b16 v[240:241], v124 offset:5120
	;; [unrolled: 3-line block ×3, first 2 shown]
	.loc	1 102 21                        ; attention_bwd.py:102:21 @[ attention_bwd.py:253:40 ]
	ds_read_b64_tr_b16 v[246:247], v125 offset:6144
	.loc	1 101 25                        ; attention_bwd.py:101:25 @[ attention_bwd.py:253:40 ]
	v_lshl_add_u64 v[112:113], v[112:113], 0, s[0:1]
	v_lshl_add_u64 v[114:115], v[114:115], 0, s[0:1]
	.loc	1 112 24                        ; attention_bwd.py:112:24 @[ attention_bwd.py:253:40 ]
	s_waitcnt lgkmcnt(13)
	v_mfma_f32_32x32x16_f16 v[32:47], v[234:237], v[188:191], v[32:47]
	.loc	1 102 21                        ; attention_bwd.py:102:21 @[ attention_bwd.py:253:40 ]
	ds_read_b64_tr_b16 v[248:249], v124 offset:6144
	.loc	1 103 21                        ; attention_bwd.py:103:21 @[ attention_bwd.py:253:40 ]
	ds_read_b64_tr_b16 v[236:237], v124 offset:14336
	ds_read_b64_tr_b16 v[234:235], v125 offset:14336
	.loc	1 102 21                        ; attention_bwd.py:102:21 @[ attention_bwd.py:253:40 ]
	ds_read_b64_tr_b16 v[250:251], v125 offset:7168
	ds_read_b64_tr_b16 v[252:253], v124 offset:7168
	.loc	1 103 21                        ; attention_bwd.py:103:21 @[ attention_bwd.py:253:40 ]
	ds_read_b64_tr_b16 v[208:209], v125 offset:15360
	ds_read_b64_tr_b16 v[210:211], v124 offset:15360
	.loc	1 104 23                        ; attention_bwd.py:104:23 @[ attention_bwd.py:253:40 ]
	s_waitcnt lgkmcnt(14)
	v_mfma_f32_32x32x16_f16 v[16:31], v[200:203], v[148:151], v[16:31]
	.loc	1 117 25                        ; attention_bwd.py:117:25 @[ attention_bwd.py:253:40 ]
	ds_read_b64 v[204:205], v120
	ds_read_b64 v[206:207], v121
	;; [unrolled: 1-line block ×4, first 2 shown]
	.loc	1 112 24                        ; attention_bwd.py:112:24 @[ attention_bwd.py:253:40 ]
	v_mfma_f32_32x32x16_f16 v[32:47], v[222:225], v[184:187], v[32:47]
	.loc	1 104 23                        ; attention_bwd.py:104:23 @[ attention_bwd.py:253:40 ]
	v_mfma_f32_32x32x16_f16 v[16:31], v[226:229], v[144:147], v[16:31]
	.loc	1 112 24                        ; attention_bwd.py:112:24 @[ attention_bwd.py:253:40 ]
	s_waitcnt lgkmcnt(14)
	v_mfma_f32_32x32x16_f16 v[32:47], v[230:233], v[180:183], v[32:47]
	.loc	1 104 23                        ; attention_bwd.py:104:23 @[ attention_bwd.py:253:40 ]
	v_mfma_f32_32x32x16_f16 v[16:31], v[238:241], v[140:143], v[16:31]
	.loc	1 112 24                        ; attention_bwd.py:112:24 @[ attention_bwd.py:253:40 ]
	s_waitcnt lgkmcnt(12)
	v_mfma_f32_32x32x16_f16 v[32:47], v[242:245], v[176:179], v[32:47]
	.loc	1 104 23                        ; attention_bwd.py:104:23 @[ attention_bwd.py:253:40 ]
	s_waitcnt lgkmcnt(10)
	;; [unrolled: 3-line block ×5, first 2 shown]
	v_mfma_f32_32x32x16_f16 v[32:47], v[208:211], v[162:165], v[32:47]
	.loc	1 105 30                        ; attention_bwd.py:105:30 @[ attention_bwd.py:253:40 ]
	s_nop 9
	v_sub_f32_e32 v208, v16, v116
	v_sub_f32_e32 v209, v17, v116
	;; [unrolled: 1-line block ×7, first 2 shown]
	.loc	1 113 23                        ; attention_bwd.py:113:23 @[ attention_bwd.py:253:40 ]
	v_pk_add_f32 v[16:17], v[32:33], v[82:83] neg_lo:[0,1] neg_hi:[0,1]
	.loc	1 105 25                        ; attention_bwd.py:105:25 @[ attention_bwd.py:253:40 ]
	v_exp_f32_e32 v32, v208
	v_exp_f32_e32 v33, v209
	.loc	1 105 30 is_stmt 0              ; attention_bwd.py:105:30 @[ attention_bwd.py:253:40 ]
	v_sub_f32_e32 v223, v21, v116
	v_sub_f32_e32 v224, v22, v116
	;; [unrolled: 1-line block ×3, first 2 shown]
	.loc	1 113 23 is_stmt 1              ; attention_bwd.py:113:23 @[ attention_bwd.py:253:40 ]
	v_pk_add_f32 v[24:25], v[40:41], v[82:83] neg_lo:[0,1] neg_hi:[0,1]
	.loc	1 105 25                        ; attention_bwd.py:105:25 @[ attention_bwd.py:253:40 ]
	v_exp_f32_e32 v40, v226
	v_exp_f32_e32 v41, v227
	.loc	1 105 30 is_stmt 0              ; attention_bwd.py:105:30 @[ attention_bwd.py:253:40 ]
	v_sub_f32_e32 v228, v26, v116
	v_sub_f32_e32 v229, v27, v116
	;; [unrolled: 1-line block ×6, first 2 shown]
	.loc	1 113 23 is_stmt 1              ; attention_bwd.py:113:23 @[ attention_bwd.py:253:40 ]
	v_pk_add_f32 v[18:19], v[34:35], v[82:83] neg_lo:[0,1] neg_hi:[0,1]
	v_pk_add_f32 v[20:21], v[36:37], v[82:83] neg_lo:[0,1] neg_hi:[0,1]
	;; [unrolled: 1-line block ×3, first 2 shown]
	.loc	1 105 25                        ; attention_bwd.py:105:25 @[ attention_bwd.py:253:40 ]
	v_exp_f32_e32 v34, v210
	v_exp_f32_e32 v35, v211
	;; [unrolled: 1-line block ×6, first 2 shown]
	.loc	1 113 23                        ; attention_bwd.py:113:23 @[ attention_bwd.py:253:40 ]
	v_pk_add_f32 v[26:27], v[42:43], v[82:83] neg_lo:[0,1] neg_hi:[0,1]
	v_pk_add_f32 v[28:29], v[44:45], v[82:83] neg_lo:[0,1] neg_hi:[0,1]
	;; [unrolled: 1-line block ×3, first 2 shown]
	.loc	1 105 25                        ; attention_bwd.py:105:25 @[ attention_bwd.py:253:40 ]
	v_exp_f32_e32 v42, v228
	v_exp_f32_e32 v43, v229
	;; [unrolled: 1-line block ×6, first 2 shown]
	.loc	1 113 18                        ; attention_bwd.py:113:18 @[ attention_bwd.py:253:40 ]
	v_pk_mul_f32 v[16:17], v[32:33], v[16:17]
	v_pk_mul_f32 v[24:25], v[40:41], v[24:25]
	.loc	1 114 19                        ; attention_bwd.py:114:19 @[ attention_bwd.py:253:40 ]
	v_cvt_f16_f32_e32 v16, v16
	v_cvt_f16_f32_e32 v17, v17
	.loc	1 113 18                        ; attention_bwd.py:113:18 @[ attention_bwd.py:253:40 ]
	v_pk_mul_f32 v[18:19], v[34:35], v[18:19]
	v_pk_mul_f32 v[20:21], v[36:37], v[20:21]
	;; [unrolled: 1-line block ×3, first 2 shown]
	.loc	1 114 19                        ; attention_bwd.py:114:19 @[ attention_bwd.py:253:40 ]
	v_cvt_f16_f32_e32 v24, v24
	.loc	1 113 18                        ; attention_bwd.py:113:18 @[ attention_bwd.py:253:40 ]
	v_pk_mul_f32 v[26:27], v[42:43], v[26:27]
	v_pk_mul_f32 v[28:29], v[44:45], v[28:29]
	;; [unrolled: 1-line block ×3, first 2 shown]
	.loc	1 114 19                        ; attention_bwd.py:114:19 @[ attention_bwd.py:253:40 ]
	v_cvt_f16_f32_e32 v25, v25
	v_cvt_f16_f32_e32 v18, v18
	;; [unrolled: 1-line block ×13, first 2 shown]
	ds_write_b16 v126, v16 offset:16384
	ds_write_b16 v126, v17 offset:16512
	;; [unrolled: 1-line block ×16, first 2 shown]
	s_waitcnt lgkmcnt(0)
	s_barrier
	ds_read_b64_tr_b16 v[16:17], v130 offset:16384
	ds_read_b64_tr_b16 v[18:19], v131 offset:16384
	;; [unrolled: 1-line block ×4, first 2 shown]
	.loc	1 117 25                        ; attention_bwd.py:117:25 @[ attention_bwd.py:253:40 ]
	s_waitcnt lgkmcnt(2)
	v_mfma_f32_32x32x16_f16 v[0:15], v[204:207], v[16:19], v[0:15]
	.loc	1 102 21                        ; attention_bwd.py:102:21 @[ attention_bwd.py:253:40 ]
	s_waitcnt vmcnt(15)
	ds_write_b16 v156, v212
	s_waitcnt vmcnt(14)
	ds_write_b16 v156, v213 offset:1024
	s_waitcnt vmcnt(13)
	ds_write_b16 v156, v117 offset:2048
	;; [unrolled: 2-line block ×7, first 2 shown]
	.loc	1 103 21                        ; attention_bwd.py:103:21 @[ attention_bwd.py:253:40 ]
	s_waitcnt vmcnt(6)
	ds_write_b16 v156, v220 offset:8192
	s_waitcnt vmcnt(5)
	ds_write_b16 v156, v214 offset:9216
	;; [unrolled: 2-line block ×7, first 2 shown]
	ds_write_b16 v156, v221 offset:15360
	.loc	1 117 25                        ; attention_bwd.py:117:25 @[ attention_bwd.py:253:40 ]
	s_waitcnt lgkmcnt(14)
	v_mfma_f32_32x32x16_f16 v[0:15], v[200:203], v[20:23], v[0:15]
	.loc	1 101 25                        ; attention_bwd.py:101:25 @[ attention_bwd.py:253:40 ]
	s_cbranch_scc1 .LBB0_96
	s_branch .LBB0_98
.LBB0_97:
	.loc	1 0 25 is_stmt 0                ; attention_bwd.py:0:25
	v_mov_b32_e32 v15, 0
	v_mov_b32_e32 v14, v15
	;; [unrolled: 1-line block ×16, first 2 shown]
.LBB0_98:                               ; %._crit_edge234
	.loc	1 104 23 is_stmt 1              ; attention_bwd.py:104:23 @[ attention_bwd.py:253:40 ]
	s_and_b64 vcc, exec, s[18:19]
	.loc	1 117 25                        ; attention_bwd.py:117:25 @[ attention_bwd.py:253:40 ]
	s_waitcnt lgkmcnt(0)
	s_barrier
	.loc	1 104 23                        ; attention_bwd.py:104:23 @[ attention_bwd.py:253:40 ]
	s_cbranch_vccnz .LBB0_101
; %bb.99:
	.loc	1 0 0 is_stmt 0                 ; attention_bwd.py:0 @[ attention_bwd.py:253:40 ]
	ds_read_b64_tr_b16 v[34:35], v124
	ds_read_b64_tr_b16 v[32:33], v125
	ds_read_b64_tr_b16 v[36:37], v125 offset:1024
	ds_read_b64_tr_b16 v[40:41], v125 offset:2048
	;; [unrolled: 1-line block ×6, first 2 shown]
	.loc	1 104 23                        ; attention_bwd.py:104:23 @[ attention_bwd.py:253:40 ]
	s_waitcnt lgkmcnt(6)
	v_mfma_f32_32x32x16_f16 v[16:31], v[32:35], v[168:171], 0
	.loc	1 0 0                           ; attention_bwd.py:0 @[ attention_bwd.py:253:40 ]
	ds_read_b64_tr_b16 v[34:35], v124 offset:4096
	.loc	1 104 23                        ; attention_bwd.py:104:23 @[ attention_bwd.py:253:40 ]
	s_waitcnt lgkmcnt(3)
	v_mfma_f32_32x32x16_f16 v[16:31], v[36:39], v[158:161], v[16:31]
	s_waitcnt lgkmcnt(2)
	v_mfma_f32_32x32x16_f16 v[16:31], v[40:43], v[152:155], v[16:31]
	;; [unrolled: 2-line block ×3, first 2 shown]
	.loc	1 0 0                           ; attention_bwd.py:0 @[ attention_bwd.py:253:40 ]
	ds_read_b64_tr_b16 v[32:33], v125 offset:4096
	ds_read_b64_tr_b16 v[36:37], v125 offset:5120
	;; [unrolled: 1-line block ×7, first 2 shown]
	.loc	1 104 23                        ; attention_bwd.py:104:23 @[ attention_bwd.py:253:40 ]
	s_waitcnt lgkmcnt(6)
	v_mfma_f32_32x32x16_f16 v[16:31], v[32:35], v[144:147], v[16:31]
	s_waitcnt lgkmcnt(2)
	v_mfma_f32_32x32x16_f16 v[16:31], v[36:39], v[140:143], v[16:31]
	;; [unrolled: 2-line block ×4, first 2 shown]
	.loc	1 112 24 is_stmt 1              ; attention_bwd.py:112:24 @[ attention_bwd.py:253:40 ]
	s_and_b64 vcc, exec, s[18:19]
	s_cbranch_vccz .LBB0_102
.LBB0_100:
	.loc	1 0 24 is_stmt 0                ; attention_bwd.py:0:24
	v_mov_b32_e32 v32, 0
	v_mov_b32_e32 v33, v32
	;; [unrolled: 1-line block ×16, first 2 shown]
	.loc	1 112 24                        ; attention_bwd.py:112:24 @[ attention_bwd.py:253:40 ]
	s_branch .LBB0_103
.Ltmp30:
.LBB0_101:
	.loc	1 253 40 is_stmt 1              ; attention_bwd.py:253:40
	v_mov_b32_e32 v16, 0
	v_mov_b32_e32 v17, 0
	;; [unrolled: 1-line block ×16, first 2 shown]
.Ltmp31:
	.loc	1 112 24                        ; attention_bwd.py:112:24 @[ attention_bwd.py:253:40 ]
	s_and_b64 vcc, exec, s[18:19]
	s_cbranch_vccnz .LBB0_100
.LBB0_102:
	.loc	1 0 24 is_stmt 0                ; attention_bwd.py:0:24
	ds_read_b64_tr_b16 v[86:87], v124 offset:8192
	ds_read_b64_tr_b16 v[84:85], v125 offset:8192
	;; [unrolled: 1-line block ×8, first 2 shown]
	.loc	1 112 24                        ; attention_bwd.py:112:24 @[ attention_bwd.py:253:40 ]
	s_waitcnt lgkmcnt(6)
	v_mfma_f32_32x32x16_f16 v[32:47], v[84:87], v[196:199], 0
	ds_read_b64_tr_b16 v[86:87], v124 offset:12288
	s_waitcnt lgkmcnt(3)
	v_mfma_f32_32x32x16_f16 v[32:47], v[88:91], v[192:195], v[32:47]
	s_waitcnt lgkmcnt(2)
	v_mfma_f32_32x32x16_f16 v[32:47], v[92:95], v[188:191], v[32:47]
	;; [unrolled: 2-line block ×3, first 2 shown]
	ds_read_b64_tr_b16 v[84:85], v125 offset:12288
	ds_read_b64_tr_b16 v[88:89], v125 offset:13312
	;; [unrolled: 1-line block ×7, first 2 shown]
	s_waitcnt lgkmcnt(6)
	v_mfma_f32_32x32x16_f16 v[32:47], v[84:87], v[180:183], v[32:47]
	s_waitcnt lgkmcnt(2)
	v_mfma_f32_32x32x16_f16 v[32:47], v[88:91], v[176:179], v[32:47]
	;; [unrolled: 2-line block ×4, first 2 shown]
.LBB0_103:
	.loc	1 105 30 is_stmt 1              ; attention_bwd.py:105:30 @[ attention_bwd.py:253:40 ]
	s_waitcnt vmcnt(1)
	v_sub_f32_e32 v16, v16, v116
	v_sub_f32_e32 v17, v17, v116
	.loc	1 105 25 is_stmt 0              ; attention_bwd.py:105:25 @[ attention_bwd.py:253:40 ]
	v_exp_f32_e32 v16, v16
	v_exp_f32_e32 v17, v17
	.loc	1 105 30                        ; attention_bwd.py:105:30 @[ attention_bwd.py:253:40 ]
	v_sub_f32_e32 v24, v24, v116
	v_sub_f32_e32 v25, v25, v116
	.loc	1 105 25                        ; attention_bwd.py:105:25 @[ attention_bwd.py:253:40 ]
	v_exp_f32_e32 v24, v24
	v_exp_f32_e32 v25, v25
	.loc	1 105 30                        ; attention_bwd.py:105:30 @[ attention_bwd.py:253:40 ]
	v_sub_f32_e32 v18, v18, v116
	v_sub_f32_e32 v19, v19, v116
	.loc	1 113 23 is_stmt 1              ; attention_bwd.py:113:23 @[ attention_bwd.py:253:40 ]
	s_waitcnt vmcnt(0)
	v_pk_add_f32 v[32:33], v[32:33], v[82:83] op_sel_hi:[1,0] neg_lo:[0,1] neg_hi:[0,1]
	.loc	1 105 25                        ; attention_bwd.py:105:25 @[ attention_bwd.py:253:40 ]
	v_exp_f32_e32 v18, v18
	v_exp_f32_e32 v19, v19
	.loc	1 113 18                        ; attention_bwd.py:113:18 @[ attention_bwd.py:253:40 ]
	v_pk_mul_f32 v[16:17], v[16:17], v[32:33]
	.loc	1 105 30                        ; attention_bwd.py:105:30 @[ attention_bwd.py:253:40 ]
	v_sub_f32_e32 v26, v26, v116
	v_sub_f32_e32 v27, v27, v116
	.loc	1 113 23                        ; attention_bwd.py:113:23 @[ attention_bwd.py:253:40 ]
	v_pk_add_f32 v[40:41], v[40:41], v[82:83] op_sel_hi:[1,0] neg_lo:[0,1] neg_hi:[0,1]
	.loc	1 114 19                        ; attention_bwd.py:114:19 @[ attention_bwd.py:253:40 ]
	v_cvt_f16_f32_e32 v16, v16
	.loc	1 105 25                        ; attention_bwd.py:105:25 @[ attention_bwd.py:253:40 ]
	v_exp_f32_e32 v26, v26
	v_exp_f32_e32 v27, v27
	.loc	1 113 18                        ; attention_bwd.py:113:18 @[ attention_bwd.py:253:40 ]
	v_pk_mul_f32 v[24:25], v[24:25], v[40:41]
	.loc	1 114 19                        ; attention_bwd.py:114:19 @[ attention_bwd.py:253:40 ]
	v_cvt_f16_f32_e32 v17, v17
	.loc	1 105 30                        ; attention_bwd.py:105:30 @[ attention_bwd.py:253:40 ]
	v_sub_f32_e32 v20, v20, v116
	v_sub_f32_e32 v21, v21, v116
	.loc	1 113 23                        ; attention_bwd.py:113:23 @[ attention_bwd.py:253:40 ]
	v_pk_add_f32 v[34:35], v[34:35], v[82:83] op_sel_hi:[1,0] neg_lo:[0,1] neg_hi:[0,1]
	.loc	1 114 19                        ; attention_bwd.py:114:19 @[ attention_bwd.py:253:40 ]
	v_cvt_f16_f32_e32 v24, v24
	.loc	1 105 25                        ; attention_bwd.py:105:25 @[ attention_bwd.py:253:40 ]
	v_exp_f32_e32 v20, v20
	v_exp_f32_e32 v21, v21
	.loc	1 113 18                        ; attention_bwd.py:113:18 @[ attention_bwd.py:253:40 ]
	v_pk_mul_f32 v[18:19], v[18:19], v[34:35]
	.loc	1 114 19                        ; attention_bwd.py:114:19 @[ attention_bwd.py:253:40 ]
	v_cvt_f16_f32_e32 v25, v25
	ds_read_b64 v[84:85], v120
	ds_read_b64 v[86:87], v121
	;; [unrolled: 1-line block ×4, first 2 shown]
	.loc	1 105 30                        ; attention_bwd.py:105:30 @[ attention_bwd.py:253:40 ]
	v_sub_f32_e32 v28, v28, v116
	v_sub_f32_e32 v29, v29, v116
	.loc	1 113 23                        ; attention_bwd.py:113:23 @[ attention_bwd.py:253:40 ]
	v_pk_add_f32 v[42:43], v[42:43], v[82:83] op_sel_hi:[1,0] neg_lo:[0,1] neg_hi:[0,1]
	.loc	1 114 19                        ; attention_bwd.py:114:19 @[ attention_bwd.py:253:40 ]
	ds_write_b16 v126, v16 offset:16384
	ds_write_b16 v126, v17 offset:16512
	;; [unrolled: 1-line block ×4, first 2 shown]
	v_cvt_f16_f32_e32 v16, v18
	.loc	1 105 25                        ; attention_bwd.py:105:25 @[ attention_bwd.py:253:40 ]
	v_exp_f32_e32 v28, v28
	v_exp_f32_e32 v29, v29
	.loc	1 113 18                        ; attention_bwd.py:113:18 @[ attention_bwd.py:253:40 ]
	v_pk_mul_f32 v[26:27], v[26:27], v[42:43]
	.loc	1 114 19                        ; attention_bwd.py:114:19 @[ attention_bwd.py:253:40 ]
	v_cvt_f16_f32_e32 v17, v19
	.loc	1 105 30                        ; attention_bwd.py:105:30 @[ attention_bwd.py:253:40 ]
	v_sub_f32_e32 v22, v22, v116
	v_sub_f32_e32 v23, v23, v116
	.loc	1 113 23                        ; attention_bwd.py:113:23 @[ attention_bwd.py:253:40 ]
	v_pk_add_f32 v[36:37], v[36:37], v[82:83] op_sel_hi:[1,0] neg_lo:[0,1] neg_hi:[0,1]
	.loc	1 114 19                        ; attention_bwd.py:114:19 @[ attention_bwd.py:253:40 ]
	v_cvt_f16_f32_e32 v18, v26
	.loc	1 105 25                        ; attention_bwd.py:105:25 @[ attention_bwd.py:253:40 ]
	v_exp_f32_e32 v22, v22
	v_exp_f32_e32 v23, v23
	.loc	1 113 18                        ; attention_bwd.py:113:18 @[ attention_bwd.py:253:40 ]
	v_pk_mul_f32 v[20:21], v[20:21], v[36:37]
	.loc	1 114 19                        ; attention_bwd.py:114:19 @[ attention_bwd.py:253:40 ]
	v_cvt_f16_f32_e32 v19, v27
	.loc	1 105 30                        ; attention_bwd.py:105:30 @[ attention_bwd.py:253:40 ]
	v_sub_f32_e32 v30, v30, v116
	v_sub_f32_e32 v31, v31, v116
	.loc	1 113 23                        ; attention_bwd.py:113:23 @[ attention_bwd.py:253:40 ]
	v_pk_add_f32 v[44:45], v[44:45], v[82:83] op_sel_hi:[1,0] neg_lo:[0,1] neg_hi:[0,1]
	.loc	1 114 19                        ; attention_bwd.py:114:19 @[ attention_bwd.py:253:40 ]
	ds_write_b16 v127, v16 offset:16640
	ds_write_b16 v127, v17 offset:16768
	;; [unrolled: 1-line block ×4, first 2 shown]
	v_cvt_f16_f32_e32 v16, v20
	.loc	1 105 25                        ; attention_bwd.py:105:25 @[ attention_bwd.py:253:40 ]
	v_exp_f32_e32 v30, v30
	v_exp_f32_e32 v31, v31
	.loc	1 113 18                        ; attention_bwd.py:113:18 @[ attention_bwd.py:253:40 ]
	v_pk_mul_f32 v[28:29], v[28:29], v[44:45]
	.loc	1 114 19                        ; attention_bwd.py:114:19 @[ attention_bwd.py:253:40 ]
	v_cvt_f16_f32_e32 v17, v21
	.loc	1 113 23                        ; attention_bwd.py:113:23 @[ attention_bwd.py:253:40 ]
	v_pk_add_f32 v[38:39], v[38:39], v[82:83] op_sel_hi:[1,0] neg_lo:[0,1] neg_hi:[0,1]
	.loc	1 114 19                        ; attention_bwd.py:114:19 @[ attention_bwd.py:253:40 ]
	v_cvt_f16_f32_e32 v18, v28
	.loc	1 113 18                        ; attention_bwd.py:113:18 @[ attention_bwd.py:253:40 ]
	v_pk_mul_f32 v[22:23], v[22:23], v[38:39]
	.loc	1 114 19                        ; attention_bwd.py:114:19 @[ attention_bwd.py:253:40 ]
	v_cvt_f16_f32_e32 v19, v29
	.loc	1 113 23                        ; attention_bwd.py:113:23 @[ attention_bwd.py:253:40 ]
	v_pk_add_f32 v[46:47], v[46:47], v[82:83] op_sel_hi:[1,0] neg_lo:[0,1] neg_hi:[0,1]
	.loc	1 114 19                        ; attention_bwd.py:114:19 @[ attention_bwd.py:253:40 ]
	ds_write_b16 v128, v16 offset:17408
	ds_write_b16 v128, v17 offset:17536
	;; [unrolled: 1-line block ×4, first 2 shown]
	v_cvt_f16_f32_e32 v16, v22
	.loc	1 113 18                        ; attention_bwd.py:113:18 @[ attention_bwd.py:253:40 ]
	v_pk_mul_f32 v[30:31], v[30:31], v[46:47]
	.loc	1 114 19                        ; attention_bwd.py:114:19 @[ attention_bwd.py:253:40 ]
	v_cvt_f16_f32_e32 v17, v23
	v_cvt_f16_f32_e32 v18, v30
	;; [unrolled: 1-line block ×3, first 2 shown]
	.loc	1 117 25                        ; attention_bwd.py:117:25 @[ attention_bwd.py:253:40 ]
	s_and_b64 vcc, exec, s[18:19]
	.loc	1 114 19                        ; attention_bwd.py:114:19 @[ attention_bwd.py:253:40 ]
	ds_write_b16 v129, v16 offset:17664
	ds_write_b16 v129, v17 offset:17792
	;; [unrolled: 1-line block ×4, first 2 shown]
	s_waitcnt lgkmcnt(0)
	s_barrier
	.loc	1 117 25                        ; attention_bwd.py:117:25 @[ attention_bwd.py:253:40 ]
	s_cbranch_vccnz .LBB0_105
; %bb.104:
	.loc	1 0 0 is_stmt 0                 ; attention_bwd.py:0 @[ attention_bwd.py:253:40 ]
	ds_read_b64_tr_b16 v[16:17], v130 offset:16384
	ds_read_b64_tr_b16 v[18:19], v131 offset:16384
	;; [unrolled: 1-line block ×4, first 2 shown]
	.loc	1 117 25                        ; attention_bwd.py:117:25 @[ attention_bwd.py:253:40 ]
	s_waitcnt lgkmcnt(2)
	v_mfma_f32_32x32x16_f16 v[0:15], v[84:87], v[16:19], v[0:15]
	s_waitcnt lgkmcnt(0)
	v_mfma_f32_32x32x16_f16 v[0:15], v[88:91], v[20:23], v[0:15]
.Ltmp32:
.LBB0_105:                              ; %._crit_edge274
	.loc	1 0 25                          ; attention_bwd.py:0:25
	v_readlane_b32 s0, v255, 2
	v_readlane_b32 s1, v255, 3
	.loc	1 152 10 is_stmt 1              ; attention_bwd.py:152:10
	s_add_u32 s0, s0, s34
	s_addc_u32 s1, s1, s35
	.loc	1 257 19                        ; attention_bwd.py:257:19
	v_lshl_add_u64 v[16:17], v[48:49], 1, s[0:1]
	s_mov_b32 s0, 0x3f317218
	.loc	1 258 10                        ; attention_bwd.py:258:10
	s_nop 5
	v_pk_mul_f32 v[0:1], v[0:1], s[0:1] op_sel_hi:[1,0]
	v_pk_mul_f32 v[2:3], v[2:3], s[0:1] op_sel_hi:[1,0]
	;; [unrolled: 1-line block ×8, first 2 shown]
	.loc	1 259 22                        ; attention_bwd.py:259:22
	v_cvt_pk_f16_f32 v0, v0, v1
	v_cvt_pk_f16_f32 v1, v2, v3
	;; [unrolled: 1-line block ×3, first 2 shown]
	.loc	1 257 50                        ; attention_bwd.py:257:50
	v_lshl_add_u64 v[18:19], v[50:51], 1, v[16:17]
	.loc	1 259 22                        ; attention_bwd.py:259:22
	v_cvt_pk_f16_f32 v3, v6, v7
	v_cvt_pk_f16_f32 v4, v8, v9
	v_cvt_pk_f16_f32 v5, v10, v11
	v_cvt_pk_f16_f32 v6, v12, v13
	v_cvt_pk_f16_f32 v7, v14, v15
	v_permlane32_swap_b32_e32 v0, v2
	.loc	1 257 50                        ; attention_bwd.py:257:50
	v_lshl_add_u64 v[20:21], v[52:53], 1, v[16:17]
	v_lshl_add_u64 v[22:23], v[54:55], 1, v[16:17]
	v_lshl_add_u64 v[24:25], v[56:57], 1, v[16:17]
	v_lshl_add_u64 v[26:27], v[58:59], 1, v[16:17]
	v_lshl_add_u64 v[28:29], v[60:61], 1, v[16:17]
	v_lshl_add_u64 v[30:31], v[62:63], 1, v[16:17]
	v_lshl_add_u64 v[32:33], v[64:65], 1, v[16:17]
	v_lshl_add_u64 v[34:35], v[66:67], 1, v[16:17]
	v_lshl_add_u64 v[36:37], v[68:69], 1, v[16:17]
	v_lshl_add_u64 v[38:39], v[70:71], 1, v[16:17]
	v_lshl_add_u64 v[40:41], v[72:73], 1, v[16:17]
	v_lshl_add_u64 v[42:43], v[74:75], 1, v[16:17]
	v_lshl_add_u64 v[44:45], v[76:77], 1, v[16:17]
	v_lshl_add_u64 v[46:47], v[78:79], 1, v[16:17]
	v_lshl_add_u64 v[16:17], v[80:81], 1, v[16:17]
	.loc	1 259 22                        ; attention_bwd.py:259:22
	v_permlane32_swap_b32_e32 v1, v3
	v_permlane32_swap_b32_e32 v4, v6
	;; [unrolled: 1-line block ×3, first 2 shown]
	global_store_short v[18:19], v0, off
	global_store_short_d16_hi v[20:21], v0, off
	global_store_short v[22:23], v1, off
	global_store_short_d16_hi v[24:25], v1, off
	;; [unrolled: 2-line block ×8, first 2 shown]
	.loc	1 259 4 is_stmt 0               ; attention_bwd.py:259:4
	s_endpgm
.Ltmp33:
	.section	.rodata,"a",@progbits
	.p2align	6, 0x0
	.amdhsa_kernel _attn_bwd
		.amdhsa_group_segment_fixed_size 0
		.amdhsa_private_segment_fixed_size 388
		.amdhsa_kernarg_size 120
		.amdhsa_user_sgpr_count 16
		.amdhsa_user_sgpr_dispatch_ptr 0
		.amdhsa_user_sgpr_queue_ptr 0
		.amdhsa_user_sgpr_kernarg_segment_ptr 1
		.amdhsa_user_sgpr_dispatch_id 0
		.amdhsa_user_sgpr_kernarg_preload_length 14
		.amdhsa_user_sgpr_kernarg_preload_offset 0
		.amdhsa_user_sgpr_private_segment_size 0
		.amdhsa_uses_dynamic_stack 0
		.amdhsa_enable_private_segment 1
		.amdhsa_system_sgpr_workgroup_id_x 1
		.amdhsa_system_sgpr_workgroup_id_y 0
		.amdhsa_system_sgpr_workgroup_id_z 1
		.amdhsa_system_sgpr_workgroup_info 0
		.amdhsa_system_vgpr_workitem_id 0
		.amdhsa_next_free_vgpr 256
		.amdhsa_next_free_sgpr 100
		.amdhsa_accum_offset 256
		.amdhsa_reserve_vcc 1
		.amdhsa_reserve_xnack_mask 1
		.amdhsa_float_round_mode_32 0
		.amdhsa_float_round_mode_16_64 0
		.amdhsa_float_denorm_mode_32 3
		.amdhsa_float_denorm_mode_16_64 3
		.amdhsa_dx10_clamp 1
		.amdhsa_ieee_mode 1
		.amdhsa_fp16_overflow 0
		.amdhsa_tg_split 0
		.amdhsa_exception_fp_ieee_invalid_op 0
		.amdhsa_exception_fp_denorm_src 0
		.amdhsa_exception_fp_ieee_div_zero 0
		.amdhsa_exception_fp_ieee_overflow 0
		.amdhsa_exception_fp_ieee_underflow 0
		.amdhsa_exception_fp_ieee_inexact 0
		.amdhsa_exception_int_div_zero 0
	.end_amdhsa_kernel
	.text
.Lfunc_end0:
	.size	_attn_bwd, .Lfunc_end0-_attn_bwd
	.cfi_endproc
                                        ; -- End function
	.set _attn_bwd.num_vgpr, 256
	.set _attn_bwd.num_agpr, 0
	.set _attn_bwd.numbered_sgpr, 100
	.set _attn_bwd.num_named_barrier, 0
	.set _attn_bwd.private_seg_size, 388
	.set _attn_bwd.uses_vcc, 1
	.set _attn_bwd.uses_flat_scratch, 0
	.set _attn_bwd.has_dyn_sized_stack, 0
	.set _attn_bwd.has_recursion, 0
	.set _attn_bwd.has_indirect_call, 0
	.section	.AMDGPU.csdata,"",@progbits
; Kernel info:
; codeLenInByte = 17596
; TotalNumSgprs: 106
; NumVgprs: 256
; NumAgprs: 0
; TotalNumVgprs: 256
; ScratchSize: 388
; MemoryBound: 0
; FloatMode: 240
; IeeeMode: 1
; LDSByteSize: 0 bytes/workgroup (compile time only)
; SGPRBlocks: 13
; VGPRBlocks: 31
; NumSGPRsForWavesPerEU: 106
; NumVGPRsForWavesPerEU: 256
; AccumOffset: 256
; Occupancy: 2
; WaveLimiterHint : 0
; COMPUTE_PGM_RSRC2:SCRATCH_EN: 1
; COMPUTE_PGM_RSRC2:USER_SGPR: 16
; COMPUTE_PGM_RSRC2:TRAP_HANDLER: 0
; COMPUTE_PGM_RSRC2:TGID_X_EN: 1
; COMPUTE_PGM_RSRC2:TGID_Y_EN: 0
; COMPUTE_PGM_RSRC2:TGID_Z_EN: 1
; COMPUTE_PGM_RSRC2:TIDIG_COMP_CNT: 0
; COMPUTE_PGM_RSRC3_GFX90A:ACCUM_OFFSET: 63
; COMPUTE_PGM_RSRC3_GFX90A:TG_SPLIT: 0
	.text
	.p2alignl 6, 3212836864
	.fill 256, 4, 3212836864
	.section	.AMDGPU.gpr_maximums,"",@progbits
	.set amdgpu.max_num_vgpr, 0
	.set amdgpu.max_num_agpr, 0
	.set amdgpu.max_num_sgpr, 0
	.set amdgpu.max_num_named_barrier, 0
	.text
	.section	.debug_abbrev,"",@progbits
	.byte	1                               ; Abbreviation Code
	.byte	17                              ; DW_TAG_compile_unit
	.byte	1                               ; DW_CHILDREN_yes
	.byte	37                              ; DW_AT_producer
	.byte	14                              ; DW_FORM_strp
	.byte	19                              ; DW_AT_language
	.byte	5                               ; DW_FORM_data2
	.byte	3                               ; DW_AT_name
	.byte	14                              ; DW_FORM_strp
	.byte	16                              ; DW_AT_stmt_list
	.byte	23                              ; DW_FORM_sec_offset
	.byte	27                              ; DW_AT_comp_dir
	.byte	14                              ; DW_FORM_strp
	.byte	17                              ; DW_AT_low_pc
	.byte	1                               ; DW_FORM_addr
	.byte	18                              ; DW_AT_high_pc
	.byte	6                               ; DW_FORM_data4
	.byte	0                               ; EOM(1)
	.byte	0                               ; EOM(2)
	.byte	2                               ; Abbreviation Code
	.byte	46                              ; DW_TAG_subprogram
	.byte	0                               ; DW_CHILDREN_no
	.byte	3                               ; DW_AT_name
	.byte	14                              ; DW_FORM_strp
	.byte	32                              ; DW_AT_inline
	.byte	11                              ; DW_FORM_data1
	.byte	0                               ; EOM(1)
	.byte	0                               ; EOM(2)
	.byte	3                               ; Abbreviation Code
	.byte	46                              ; DW_TAG_subprogram
	.byte	1                               ; DW_CHILDREN_yes
	.byte	17                              ; DW_AT_low_pc
	.byte	1                               ; DW_FORM_addr
	.byte	18                              ; DW_AT_high_pc
	.byte	6                               ; DW_FORM_data4
	.byte	49                              ; DW_AT_abstract_origin
	.byte	19                              ; DW_FORM_ref4
	.byte	0                               ; EOM(1)
	.byte	0                               ; EOM(2)
	.byte	4                               ; Abbreviation Code
	.byte	29                              ; DW_TAG_inlined_subroutine
	.byte	0                               ; DW_CHILDREN_no
	.byte	49                              ; DW_AT_abstract_origin
	.byte	19                              ; DW_FORM_ref4
	.byte	85                              ; DW_AT_ranges
	.byte	23                              ; DW_FORM_sec_offset
	.byte	88                              ; DW_AT_call_file
	.byte	11                              ; DW_FORM_data1
	.byte	89                              ; DW_AT_call_line
	.byte	11                              ; DW_FORM_data1
	.byte	87                              ; DW_AT_call_column
	.byte	11                              ; DW_FORM_data1
	.byte	0                               ; EOM(1)
	.byte	0                               ; EOM(2)
	;; [unrolled: 1-line block ×3, first 2 shown]
	.section	.debug_info,"",@progbits
.Lcu_begin0:
	.long	.Ldebug_info_end0-.Ldebug_info_start0 ; Length of Unit
.Ldebug_info_start0:
	.short	4                               ; DWARF version number
	.long	.debug_abbrev                   ; Offset Into Abbrev. Section
	.byte	8                               ; Address Size (in bytes)
	.byte	1                               ; Abbrev [1] 0xb:0x50 DW_TAG_compile_unit
	.long	.Linfo_string0                  ; DW_AT_producer
	.short	2                               ; DW_AT_language
	.long	.Linfo_string1                  ; DW_AT_name
	.long	.Lline_table_start0             ; DW_AT_stmt_list
	.long	.Linfo_string2                  ; DW_AT_comp_dir
	.quad	.Lfunc_begin0                   ; DW_AT_low_pc
	.long	.Lfunc_end0-.Lfunc_begin0       ; DW_AT_high_pc
	.byte	2                               ; Abbrev [2] 0x2a:0x6 DW_TAG_subprogram
	.long	.Linfo_string3                  ; DW_AT_name
	.byte	1                               ; DW_AT_inline
	.byte	3                               ; Abbrev [3] 0x30:0x2a DW_TAG_subprogram
	.quad	.Lfunc_begin0                   ; DW_AT_low_pc
	.long	.Lfunc_end0-.Lfunc_begin0       ; DW_AT_high_pc
	.long	42                              ; DW_AT_abstract_origin
	.byte	4                               ; Abbrev [4] 0x41:0xc DW_TAG_inlined_subroutine
	.long	42                              ; DW_AT_abstract_origin
	.long	.Ldebug_ranges0                 ; DW_AT_ranges
	.byte	1                               ; DW_AT_call_file
	.byte	253                             ; DW_AT_call_line
	.byte	40                              ; DW_AT_call_column
	.byte	4                               ; Abbrev [4] 0x4d:0xc DW_TAG_inlined_subroutine
	.long	42                              ; DW_AT_abstract_origin
	.long	.Ldebug_ranges1                 ; DW_AT_ranges
	.byte	1                               ; DW_AT_call_file
	.byte	200                             ; DW_AT_call_line
	.byte	26                              ; DW_AT_call_column
	.byte	0                               ; End Of Children Mark
	.byte	0                               ; End Of Children Mark
.Ldebug_info_end0:
	.section	.debug_ranges,"",@progbits
.Ldebug_ranges0:
	.quad	.Ltmp1-.Lfunc_begin0
	.quad	.Ltmp2-.Lfunc_begin0
	;; [unrolled: 1-line block ×8, first 2 shown]
	.quad	0
	.quad	0
.Ldebug_ranges1:
	.quad	.Ltmp3-.Lfunc_begin0
	.quad	.Ltmp4-.Lfunc_begin0
	;; [unrolled: 1-line block ×24, first 2 shown]
	.quad	0
	.quad	0
	.section	.debug_str,"MS",@progbits,1
.Linfo_string0:
	.asciz	"triton"                        ; string offset=0
.Linfo_string1:
	.asciz	"attention_bwd.py"              ; string offset=7
.Linfo_string2:
	.asciz	"/root/src/amdgpu-assembly/repos/triton-lang__triton-aot" ; string offset=24
.Linfo_string3:
	.asciz	"_attn_bwd"                     ; string offset=80
	.section	".note.GNU-stack","",@progbits
	.amdgpu_metadata
---
amdhsa.kernels:
  - .agpr_count:     0
    .args:
      - .address_space:  global
        .offset:         0
        .size:           8
        .value_kind:     global_buffer
      - .address_space:  global
        .offset:         8
        .size:           8
        .value_kind:     global_buffer
      - .address_space:  global
        .offset:         16
        .size:           8
        .value_kind:     global_buffer
      - .offset:         24
        .size:           4
        .value_kind:     by_value
      - .address_space:  global
        .offset:         32
        .size:           8
        .value_kind:     global_buffer
      - .address_space:  global
        .offset:         40
        .size:           8
        .value_kind:     global_buffer
      - .address_space:  global
        .offset:         48
        .size:           8
        .value_kind:     global_buffer
      - .address_space:  global
        .offset:         56
        .size:           8
        .value_kind:     global_buffer
      - .address_space:  global
        .offset:         64
        .size:           8
        .value_kind:     global_buffer
      - .address_space:  global
        .offset:         72
        .size:           8
        .value_kind:     global_buffer
      - .offset:         80
        .size:           4
        .value_kind:     by_value
      - .offset:         84
        .size:           4
        .value_kind:     by_value
      - .offset:         88
        .size:           4
        .value_kind:     by_value
      - .offset:         92
        .size:           4
        .value_kind:     by_value
      - .offset:         96
        .size:           4
        .value_kind:     by_value
      - .offset:         100
        .size:           4
        .value_kind:     by_value
      - .address_space:  global
        .offset:         104
        .size:           8
        .value_kind:     global_buffer
      - .address_space:  global
        .offset:         112
        .size:           8
        .value_kind:     global_buffer
    .group_segment_fixed_size: 0
    .kernarg_segment_align: 8
    .kernarg_segment_size: 120
    .max_flat_workgroup_size: 512
    .name:           _attn_bwd
    .private_segment_fixed_size: 388
    .sgpr_count:     106
    .sgpr_spill_count: 4
    .symbol:         _attn_bwd.kd
    .uniform_work_group_size: 1
    .uses_dynamic_stack: false
    .vgpr_count:     256
    .vgpr_spill_count: 96
    .wavefront_size: 64
amdhsa.target:   amdgcn-amd-amdhsa--gfx950
amdhsa.version:
  - 1
  - 2
...

	.end_amdgpu_metadata
	.section	.debug_line,"",@progbits
.Lline_table_start0:
